;; amdgpu-corpus repo=ROCm/rocFFT kind=compiled arch=gfx1201 opt=O3
	.text
	.amdgcn_target "amdgcn-amd-amdhsa--gfx1201"
	.amdhsa_code_object_version 6
	.protected	fft_rtc_back_len1734_factors_17_17_6_wgs_102_tpt_102_halfLds_half_ip_CI_unitstride_sbrr_C2R_dirReg ; -- Begin function fft_rtc_back_len1734_factors_17_17_6_wgs_102_tpt_102_halfLds_half_ip_CI_unitstride_sbrr_C2R_dirReg
	.globl	fft_rtc_back_len1734_factors_17_17_6_wgs_102_tpt_102_halfLds_half_ip_CI_unitstride_sbrr_C2R_dirReg
	.p2align	8
	.type	fft_rtc_back_len1734_factors_17_17_6_wgs_102_tpt_102_halfLds_half_ip_CI_unitstride_sbrr_C2R_dirReg,@function
fft_rtc_back_len1734_factors_17_17_6_wgs_102_tpt_102_halfLds_half_ip_CI_unitstride_sbrr_C2R_dirReg: ; @fft_rtc_back_len1734_factors_17_17_6_wgs_102_tpt_102_halfLds_half_ip_CI_unitstride_sbrr_C2R_dirReg
; %bb.0:
	s_clause 0x2
	s_load_b128 s[4:7], s[0:1], 0x0
	s_load_b64 s[8:9], s[0:1], 0x50
	s_load_b64 s[10:11], s[0:1], 0x18
	v_mul_u32_u24_e32 v1, 0x283, v0
	v_mov_b32_e32 v3, 0
	s_delay_alu instid0(VALU_DEP_2) | instskip(NEXT) | instid1(VALU_DEP_1)
	v_lshrrev_b32_e32 v1, 16, v1
	v_add_nc_u32_e32 v5, ttmp9, v1
	v_mov_b32_e32 v1, 0
	v_mov_b32_e32 v2, 0
	;; [unrolled: 1-line block ×3, first 2 shown]
	s_wait_kmcnt 0x0
	v_cmp_lt_u64_e64 s2, s[6:7], 2
	s_delay_alu instid0(VALU_DEP_1)
	s_and_b32 vcc_lo, exec_lo, s2
	s_cbranch_vccnz .LBB0_8
; %bb.1:
	s_load_b64 s[2:3], s[0:1], 0x10
	v_mov_b32_e32 v1, 0
	v_mov_b32_e32 v2, 0
	s_add_nc_u64 s[12:13], s[10:11], 8
	s_mov_b64 s[14:15], 1
	s_wait_kmcnt 0x0
	s_add_nc_u64 s[16:17], s[2:3], 8
	s_mov_b32 s3, 0
.LBB0_2:                                ; =>This Inner Loop Header: Depth=1
	s_load_b64 s[18:19], s[16:17], 0x0
                                        ; implicit-def: $vgpr7_vgpr8
	s_mov_b32 s2, exec_lo
	s_wait_kmcnt 0x0
	v_or_b32_e32 v4, s19, v6
	s_delay_alu instid0(VALU_DEP_1)
	v_cmpx_ne_u64_e32 0, v[3:4]
	s_wait_alu 0xfffe
	s_xor_b32 s20, exec_lo, s2
	s_cbranch_execz .LBB0_4
; %bb.3:                                ;   in Loop: Header=BB0_2 Depth=1
	s_cvt_f32_u32 s2, s18
	s_cvt_f32_u32 s21, s19
	s_sub_nc_u64 s[24:25], 0, s[18:19]
	s_wait_alu 0xfffe
	s_delay_alu instid0(SALU_CYCLE_1) | instskip(SKIP_1) | instid1(SALU_CYCLE_2)
	s_fmamk_f32 s2, s21, 0x4f800000, s2
	s_wait_alu 0xfffe
	v_s_rcp_f32 s2, s2
	s_delay_alu instid0(TRANS32_DEP_1) | instskip(SKIP_1) | instid1(SALU_CYCLE_2)
	s_mul_f32 s2, s2, 0x5f7ffffc
	s_wait_alu 0xfffe
	s_mul_f32 s21, s2, 0x2f800000
	s_wait_alu 0xfffe
	s_delay_alu instid0(SALU_CYCLE_2) | instskip(SKIP_1) | instid1(SALU_CYCLE_2)
	s_trunc_f32 s21, s21
	s_wait_alu 0xfffe
	s_fmamk_f32 s2, s21, 0xcf800000, s2
	s_cvt_u32_f32 s23, s21
	s_wait_alu 0xfffe
	s_delay_alu instid0(SALU_CYCLE_1) | instskip(SKIP_1) | instid1(SALU_CYCLE_2)
	s_cvt_u32_f32 s22, s2
	s_wait_alu 0xfffe
	s_mul_u64 s[26:27], s[24:25], s[22:23]
	s_wait_alu 0xfffe
	s_mul_hi_u32 s29, s22, s27
	s_mul_i32 s28, s22, s27
	s_mul_hi_u32 s2, s22, s26
	s_mul_i32 s30, s23, s26
	s_wait_alu 0xfffe
	s_add_nc_u64 s[28:29], s[2:3], s[28:29]
	s_mul_hi_u32 s21, s23, s26
	s_mul_hi_u32 s31, s23, s27
	s_add_co_u32 s2, s28, s30
	s_wait_alu 0xfffe
	s_add_co_ci_u32 s2, s29, s21
	s_mul_i32 s26, s23, s27
	s_add_co_ci_u32 s27, s31, 0
	s_wait_alu 0xfffe
	s_add_nc_u64 s[26:27], s[2:3], s[26:27]
	s_wait_alu 0xfffe
	v_add_co_u32 v4, s2, s22, s26
	s_delay_alu instid0(VALU_DEP_1) | instskip(SKIP_1) | instid1(VALU_DEP_1)
	s_cmp_lg_u32 s2, 0
	s_add_co_ci_u32 s23, s23, s27
	v_readfirstlane_b32 s22, v4
	s_wait_alu 0xfffe
	s_delay_alu instid0(VALU_DEP_1)
	s_mul_u64 s[24:25], s[24:25], s[22:23]
	s_wait_alu 0xfffe
	s_mul_hi_u32 s27, s22, s25
	s_mul_i32 s26, s22, s25
	s_mul_hi_u32 s2, s22, s24
	s_mul_i32 s28, s23, s24
	s_wait_alu 0xfffe
	s_add_nc_u64 s[26:27], s[2:3], s[26:27]
	s_mul_hi_u32 s21, s23, s24
	s_mul_hi_u32 s22, s23, s25
	s_wait_alu 0xfffe
	s_add_co_u32 s2, s26, s28
	s_add_co_ci_u32 s2, s27, s21
	s_mul_i32 s24, s23, s25
	s_add_co_ci_u32 s25, s22, 0
	s_wait_alu 0xfffe
	s_add_nc_u64 s[24:25], s[2:3], s[24:25]
	s_wait_alu 0xfffe
	v_add_co_u32 v4, s2, v4, s24
	s_delay_alu instid0(VALU_DEP_1) | instskip(SKIP_1) | instid1(VALU_DEP_1)
	s_cmp_lg_u32 s2, 0
	s_add_co_ci_u32 s2, s23, s25
	v_mul_hi_u32 v13, v5, v4
	s_wait_alu 0xfffe
	v_mad_co_u64_u32 v[7:8], null, v5, s2, 0
	v_mad_co_u64_u32 v[9:10], null, v6, v4, 0
	;; [unrolled: 1-line block ×3, first 2 shown]
	s_delay_alu instid0(VALU_DEP_3) | instskip(SKIP_1) | instid1(VALU_DEP_4)
	v_add_co_u32 v4, vcc_lo, v13, v7
	s_wait_alu 0xfffd
	v_add_co_ci_u32_e32 v7, vcc_lo, 0, v8, vcc_lo
	s_delay_alu instid0(VALU_DEP_2) | instskip(SKIP_1) | instid1(VALU_DEP_2)
	v_add_co_u32 v4, vcc_lo, v4, v9
	s_wait_alu 0xfffd
	v_add_co_ci_u32_e32 v4, vcc_lo, v7, v10, vcc_lo
	s_wait_alu 0xfffd
	v_add_co_ci_u32_e32 v7, vcc_lo, 0, v12, vcc_lo
	s_delay_alu instid0(VALU_DEP_2) | instskip(SKIP_1) | instid1(VALU_DEP_2)
	v_add_co_u32 v4, vcc_lo, v4, v11
	s_wait_alu 0xfffd
	v_add_co_ci_u32_e32 v9, vcc_lo, 0, v7, vcc_lo
	s_delay_alu instid0(VALU_DEP_2) | instskip(SKIP_1) | instid1(VALU_DEP_3)
	v_mul_lo_u32 v10, s19, v4
	v_mad_co_u64_u32 v[7:8], null, s18, v4, 0
	v_mul_lo_u32 v11, s18, v9
	s_delay_alu instid0(VALU_DEP_2) | instskip(NEXT) | instid1(VALU_DEP_2)
	v_sub_co_u32 v7, vcc_lo, v5, v7
	v_add3_u32 v8, v8, v11, v10
	s_delay_alu instid0(VALU_DEP_1) | instskip(SKIP_1) | instid1(VALU_DEP_1)
	v_sub_nc_u32_e32 v10, v6, v8
	s_wait_alu 0xfffd
	v_subrev_co_ci_u32_e64 v10, s2, s19, v10, vcc_lo
	v_add_co_u32 v11, s2, v4, 2
	s_wait_alu 0xf1ff
	v_add_co_ci_u32_e64 v12, s2, 0, v9, s2
	v_sub_co_u32 v13, s2, v7, s18
	v_sub_co_ci_u32_e32 v8, vcc_lo, v6, v8, vcc_lo
	s_wait_alu 0xf1ff
	v_subrev_co_ci_u32_e64 v10, s2, 0, v10, s2
	s_delay_alu instid0(VALU_DEP_3) | instskip(NEXT) | instid1(VALU_DEP_3)
	v_cmp_le_u32_e32 vcc_lo, s18, v13
	v_cmp_eq_u32_e64 s2, s19, v8
	s_wait_alu 0xfffd
	v_cndmask_b32_e64 v13, 0, -1, vcc_lo
	v_cmp_le_u32_e32 vcc_lo, s19, v10
	s_wait_alu 0xfffd
	v_cndmask_b32_e64 v14, 0, -1, vcc_lo
	v_cmp_le_u32_e32 vcc_lo, s18, v7
	;; [unrolled: 3-line block ×3, first 2 shown]
	s_wait_alu 0xfffd
	v_cndmask_b32_e64 v15, 0, -1, vcc_lo
	v_cmp_eq_u32_e32 vcc_lo, s19, v10
	s_wait_alu 0xf1ff
	s_delay_alu instid0(VALU_DEP_2)
	v_cndmask_b32_e64 v7, v15, v7, s2
	s_wait_alu 0xfffd
	v_cndmask_b32_e32 v10, v14, v13, vcc_lo
	v_add_co_u32 v13, vcc_lo, v4, 1
	s_wait_alu 0xfffd
	v_add_co_ci_u32_e32 v14, vcc_lo, 0, v9, vcc_lo
	s_delay_alu instid0(VALU_DEP_3) | instskip(SKIP_2) | instid1(VALU_DEP_3)
	v_cmp_ne_u32_e32 vcc_lo, 0, v10
	s_wait_alu 0xfffd
	v_cndmask_b32_e32 v10, v13, v11, vcc_lo
	v_cndmask_b32_e32 v8, v14, v12, vcc_lo
	v_cmp_ne_u32_e32 vcc_lo, 0, v7
	s_wait_alu 0xfffd
	s_delay_alu instid0(VALU_DEP_2)
	v_dual_cndmask_b32 v7, v4, v10 :: v_dual_cndmask_b32 v8, v9, v8
.LBB0_4:                                ;   in Loop: Header=BB0_2 Depth=1
	s_wait_alu 0xfffe
	s_and_not1_saveexec_b32 s2, s20
	s_cbranch_execz .LBB0_6
; %bb.5:                                ;   in Loop: Header=BB0_2 Depth=1
	v_cvt_f32_u32_e32 v4, s18
	s_sub_co_i32 s20, 0, s18
	s_delay_alu instid0(VALU_DEP_1) | instskip(NEXT) | instid1(TRANS32_DEP_1)
	v_rcp_iflag_f32_e32 v4, v4
	v_mul_f32_e32 v4, 0x4f7ffffe, v4
	s_delay_alu instid0(VALU_DEP_1) | instskip(SKIP_1) | instid1(VALU_DEP_1)
	v_cvt_u32_f32_e32 v4, v4
	s_wait_alu 0xfffe
	v_mul_lo_u32 v7, s20, v4
	s_delay_alu instid0(VALU_DEP_1) | instskip(NEXT) | instid1(VALU_DEP_1)
	v_mul_hi_u32 v7, v4, v7
	v_add_nc_u32_e32 v4, v4, v7
	s_delay_alu instid0(VALU_DEP_1) | instskip(NEXT) | instid1(VALU_DEP_1)
	v_mul_hi_u32 v4, v5, v4
	v_mul_lo_u32 v7, v4, s18
	v_add_nc_u32_e32 v8, 1, v4
	s_delay_alu instid0(VALU_DEP_2) | instskip(NEXT) | instid1(VALU_DEP_1)
	v_sub_nc_u32_e32 v7, v5, v7
	v_subrev_nc_u32_e32 v9, s18, v7
	v_cmp_le_u32_e32 vcc_lo, s18, v7
	s_wait_alu 0xfffd
	s_delay_alu instid0(VALU_DEP_2) | instskip(NEXT) | instid1(VALU_DEP_1)
	v_dual_cndmask_b32 v7, v7, v9 :: v_dual_cndmask_b32 v4, v4, v8
	v_cmp_le_u32_e32 vcc_lo, s18, v7
	s_delay_alu instid0(VALU_DEP_2) | instskip(SKIP_1) | instid1(VALU_DEP_1)
	v_add_nc_u32_e32 v8, 1, v4
	s_wait_alu 0xfffd
	v_dual_cndmask_b32 v7, v4, v8 :: v_dual_mov_b32 v8, v3
.LBB0_6:                                ;   in Loop: Header=BB0_2 Depth=1
	s_wait_alu 0xfffe
	s_or_b32 exec_lo, exec_lo, s2
	s_load_b64 s[20:21], s[12:13], 0x0
	s_delay_alu instid0(VALU_DEP_1)
	v_mul_lo_u32 v4, v8, s18
	v_mul_lo_u32 v11, v7, s19
	v_mad_co_u64_u32 v[9:10], null, v7, s18, 0
	s_add_nc_u64 s[14:15], s[14:15], 1
	s_add_nc_u64 s[12:13], s[12:13], 8
	s_wait_alu 0xfffe
	v_cmp_ge_u64_e64 s2, s[14:15], s[6:7]
	s_add_nc_u64 s[16:17], s[16:17], 8
	s_delay_alu instid0(VALU_DEP_2) | instskip(NEXT) | instid1(VALU_DEP_3)
	v_add3_u32 v4, v10, v11, v4
	v_sub_co_u32 v5, vcc_lo, v5, v9
	s_wait_alu 0xfffd
	s_delay_alu instid0(VALU_DEP_2) | instskip(SKIP_3) | instid1(VALU_DEP_2)
	v_sub_co_ci_u32_e32 v4, vcc_lo, v6, v4, vcc_lo
	s_and_b32 vcc_lo, exec_lo, s2
	s_wait_kmcnt 0x0
	v_mul_lo_u32 v6, s21, v5
	v_mul_lo_u32 v4, s20, v4
	v_mad_co_u64_u32 v[1:2], null, s20, v5, v[1:2]
	s_delay_alu instid0(VALU_DEP_1)
	v_add3_u32 v2, v6, v2, v4
	s_wait_alu 0xfffe
	s_cbranch_vccnz .LBB0_9
; %bb.7:                                ;   in Loop: Header=BB0_2 Depth=1
	v_dual_mov_b32 v5, v7 :: v_dual_mov_b32 v6, v8
	s_branch .LBB0_2
.LBB0_8:
	v_dual_mov_b32 v8, v6 :: v_dual_mov_b32 v7, v5
.LBB0_9:
	s_lshl_b64 s[2:3], s[6:7], 3
	v_mul_hi_u32 v5, 0x2828283, v0
	s_wait_alu 0xfffe
	s_add_nc_u64 s[2:3], s[10:11], s[2:3]
	s_load_b64 s[2:3], s[2:3], 0x0
	s_load_b64 s[0:1], s[0:1], 0x20
	s_wait_kmcnt 0x0
	v_mul_lo_u32 v3, s2, v8
	v_mul_lo_u32 v4, s3, v7
	v_mad_co_u64_u32 v[1:2], null, s2, v7, v[1:2]
	v_cmp_gt_u64_e32 vcc_lo, s[0:1], v[7:8]
	s_delay_alu instid0(VALU_DEP_2) | instskip(SKIP_1) | instid1(VALU_DEP_2)
	v_add3_u32 v2, v4, v2, v3
	v_mul_u32_u24_e32 v4, 0x66, v5
	v_lshlrev_b64_e32 v[2:3], 2, v[1:2]
	s_delay_alu instid0(VALU_DEP_2)
	v_sub_nc_u32_e32 v0, v0, v4
	s_and_saveexec_b32 s1, vcc_lo
	s_cbranch_execz .LBB0_13
; %bb.10:
	v_mov_b32_e32 v1, 0
	s_delay_alu instid0(VALU_DEP_3) | instskip(SKIP_2) | instid1(VALU_DEP_3)
	v_add_co_u32 v4, s0, s8, v2
	s_wait_alu 0xf1ff
	v_add_co_ci_u32_e64 v5, s0, s9, v3, s0
	v_lshlrev_b64_e32 v[6:7], 2, v[0:1]
	s_mov_b32 s2, exec_lo
	s_delay_alu instid0(VALU_DEP_1) | instskip(SKIP_1) | instid1(VALU_DEP_2)
	v_add_co_u32 v6, s0, v4, v6
	s_wait_alu 0xf1ff
	v_add_co_ci_u32_e64 v7, s0, v5, v7, s0
	s_clause 0x10
	global_load_b32 v8, v[6:7], off
	global_load_b32 v9, v[6:7], off offset:408
	global_load_b32 v10, v[6:7], off offset:816
	;; [unrolled: 1-line block ×16, first 2 shown]
	v_lshl_add_u32 v7, v0, 2, 0
	s_delay_alu instid0(VALU_DEP_1)
	v_add_nc_u32_e32 v24, 0x200, v7
	v_add_nc_u32_e32 v25, 0x400, v7
	;; [unrolled: 1-line block ×7, first 2 shown]
	s_wait_loadcnt 0xf
	ds_store_2addr_b32 v7, v8, v9 offset1:102
	s_wait_loadcnt 0xd
	ds_store_2addr_b32 v24, v10, v11 offset0:76 offset1:178
	s_wait_loadcnt 0xb
	ds_store_2addr_b32 v25, v12, v13 offset0:152 offset1:254
	;; [unrolled: 2-line block ×7, first 2 shown]
	s_wait_loadcnt 0x0
	ds_store_b32 v7, v6 offset:6528
	v_cmpx_eq_u32_e32 0x65, v0
	s_cbranch_execz .LBB0_12
; %bb.11:
	global_load_b32 v4, v[4:5], off offset:6936
	v_mov_b32_e32 v0, 0x65
	s_wait_loadcnt 0x0
	ds_store_b32 v1, v4 offset:6936
.LBB0_12:
	s_wait_alu 0xfffe
	s_or_b32 exec_lo, exec_lo, s2
.LBB0_13:
	s_wait_alu 0xfffe
	s_or_b32 exec_lo, exec_lo, s1
	v_lshlrev_b32_e32 v1, 2, v0
	global_wb scope:SCOPE_SE
	s_wait_dscnt 0x0
	s_barrier_signal -1
	s_barrier_wait -1
	global_inv scope:SCOPE_SE
	v_add_nc_u32_e32 v16, 0, v1
	v_sub_nc_u32_e32 v6, 0, v1
	s_mov_b32 s1, exec_lo
                                        ; implicit-def: $vgpr4_vgpr5
	ds_load_u16 v9, v16
	ds_load_u16 v10, v6 offset:6936
	s_wait_dscnt 0x0
	v_add_f16_e32 v8, v10, v9
	v_sub_f16_e32 v7, v9, v10
	v_cmpx_ne_u32_e32 0, v0
	s_wait_alu 0xfffe
	s_xor_b32 s1, exec_lo, s1
	s_cbranch_execz .LBB0_15
; %bb.14:
	v_mov_b32_e32 v1, 0
	v_add_f16_e32 v8, v10, v9
	v_sub_f16_e32 v9, v9, v10
	s_delay_alu instid0(VALU_DEP_3) | instskip(NEXT) | instid1(VALU_DEP_1)
	v_lshlrev_b64_e32 v[4:5], 2, v[0:1]
	v_add_co_u32 v4, s0, s4, v4
	s_wait_alu 0xf1ff
	s_delay_alu instid0(VALU_DEP_2)
	v_add_co_ci_u32_e64 v5, s0, s5, v5, s0
	global_load_b32 v4, v[4:5], off offset:6868
	ds_load_u16 v5, v6 offset:6938
	ds_load_u16 v7, v16 offset:2
	s_wait_dscnt 0x0
	v_add_f16_e32 v10, v5, v7
	v_sub_f16_e32 v5, v7, v5
	s_wait_loadcnt 0x0
	v_lshrrev_b32_e32 v11, 16, v4
	s_delay_alu instid0(VALU_DEP_1) | instskip(NEXT) | instid1(VALU_DEP_3)
	v_fma_f16 v12, -v9, v11, v8
	v_fma_f16 v13, v10, v11, -v5
	v_fma_f16 v7, v10, v11, v5
	v_fma_f16 v8, v9, v11, v8
	s_delay_alu instid0(VALU_DEP_4) | instskip(NEXT) | instid1(VALU_DEP_4)
	v_fmac_f16_e32 v12, v4, v10
	v_fmac_f16_e32 v13, v9, v4
	s_delay_alu instid0(VALU_DEP_4) | instskip(NEXT) | instid1(VALU_DEP_4)
	v_fmac_f16_e32 v7, v9, v4
	v_fma_f16 v8, -v4, v10, v8
	v_dual_mov_b32 v5, v1 :: v_dual_mov_b32 v4, v0
	s_delay_alu instid0(VALU_DEP_4)
	v_pack_b32_f16 v9, v12, v13
	ds_store_b32 v6, v9 offset:6936
.LBB0_15:
	s_wait_alu 0xfffe
	s_and_not1_saveexec_b32 s0, s1
	s_cbranch_execz .LBB0_17
; %bb.16:
	v_mov_b32_e32 v1, 0
	ds_load_b32 v4, v1 offset:3468
	s_wait_dscnt 0x0
	v_pk_mul_f16 v9, 0xc0004000, v4
	v_mov_b32_e32 v4, 0
	v_mov_b32_e32 v5, 0
	ds_store_b32 v1, v9 offset:3468
.LBB0_17:
	s_wait_alu 0xfffe
	s_or_b32 exec_lo, exec_lo, s0
	v_lshlrev_b64_e32 v[4:5], 2, v[4:5]
	s_add_nc_u64 s[0:1], s[4:5], 0x1ad4
	v_perm_b32 v7, v7, v8, 0x5040100
	s_wait_alu 0xfffe
	s_delay_alu instid0(VALU_DEP_2)
	v_add_co_u32 v4, s0, s0, v4
	s_wait_alu 0xf1ff
	v_add_co_ci_u32_e64 v5, s0, s1, v5, s0
	s_mov_b32 s1, exec_lo
	s_clause 0x5
	global_load_b32 v1, v[4:5], off offset:408
	global_load_b32 v9, v[4:5], off offset:816
	;; [unrolled: 1-line block ×6, first 2 shown]
	ds_store_b32 v16, v7
	global_load_b32 v7, v[4:5], off offset:2856
	ds_load_b32 v8, v16 offset:408
	ds_load_b32 v14, v6 offset:6528
	s_wait_dscnt 0x1
	v_lshrrev_b32_e32 v15, 16, v8
	s_wait_dscnt 0x0
	v_lshrrev_b32_e32 v17, 16, v14
	v_add_f16_e32 v18, v8, v14
	v_sub_f16_e32 v8, v8, v14
	s_delay_alu instid0(VALU_DEP_3) | instskip(SKIP_3) | instid1(VALU_DEP_1)
	v_add_f16_e32 v14, v17, v15
	v_sub_f16_e32 v15, v15, v17
	s_wait_loadcnt 0x6
	v_lshrrev_b32_e32 v19, 16, v1
	v_fma_f16 v17, v8, v19, v18
	s_delay_alu instid0(VALU_DEP_3) | instskip(SKIP_2) | instid1(VALU_DEP_4)
	v_fma_f16 v20, v14, v19, v15
	v_fma_f16 v18, -v8, v19, v18
	v_fma_f16 v15, v14, v19, -v15
	v_fma_f16 v17, -v1, v14, v17
	s_delay_alu instid0(VALU_DEP_4) | instskip(NEXT) | instid1(VALU_DEP_4)
	v_fmac_f16_e32 v20, v8, v1
	v_fmac_f16_e32 v18, v1, v14
	s_delay_alu instid0(VALU_DEP_4) | instskip(NEXT) | instid1(VALU_DEP_3)
	v_fmac_f16_e32 v15, v8, v1
	v_pack_b32_f16 v1, v17, v20
	s_wait_loadcnt 0x5
	v_lshrrev_b32_e32 v17, 16, v9
	s_delay_alu instid0(VALU_DEP_3)
	v_pack_b32_f16 v8, v18, v15
	ds_store_b32 v16, v1 offset:408
	ds_store_b32 v6, v8 offset:6528
	ds_load_b32 v1, v16 offset:816
	ds_load_b32 v8, v6 offset:6120
	s_wait_dscnt 0x1
	v_lshrrev_b32_e32 v14, 16, v1
	s_wait_dscnt 0x0
	v_lshrrev_b32_e32 v15, 16, v8
	v_add_f16_e32 v18, v1, v8
	v_sub_f16_e32 v1, v1, v8
	s_delay_alu instid0(VALU_DEP_3) | instskip(SKIP_1) | instid1(VALU_DEP_3)
	v_add_f16_e32 v8, v15, v14
	v_sub_f16_e32 v14, v14, v15
	v_fma_f16 v15, v1, v17, v18
	v_fma_f16 v18, -v1, v17, v18
	s_delay_alu instid0(VALU_DEP_3) | instskip(SKIP_1) | instid1(VALU_DEP_4)
	v_fma_f16 v19, v8, v17, v14
	v_fma_f16 v14, v8, v17, -v14
	v_fma_f16 v15, -v9, v8, v15
	s_delay_alu instid0(VALU_DEP_4) | instskip(NEXT) | instid1(VALU_DEP_4)
	v_fmac_f16_e32 v18, v9, v8
	v_fmac_f16_e32 v19, v1, v9
	s_delay_alu instid0(VALU_DEP_4) | instskip(NEXT) | instid1(VALU_DEP_2)
	v_fmac_f16_e32 v14, v1, v9
	v_pack_b32_f16 v1, v15, v19
	s_delay_alu instid0(VALU_DEP_2)
	v_pack_b32_f16 v8, v18, v14
	ds_store_b32 v16, v1 offset:816
	ds_store_b32 v6, v8 offset:6120
	ds_load_b32 v1, v16 offset:1224
	ds_load_b32 v8, v6 offset:5712
	s_wait_loadcnt 0x4
	v_lshrrev_b32_e32 v15, 16, v10
	s_wait_dscnt 0x1
	v_lshrrev_b32_e32 v9, 16, v1
	s_wait_dscnt 0x0
	v_lshrrev_b32_e32 v14, 16, v8
	v_add_f16_e32 v17, v1, v8
	v_sub_f16_e32 v1, v1, v8
	s_delay_alu instid0(VALU_DEP_3) | instskip(SKIP_1) | instid1(VALU_DEP_3)
	v_add_f16_e32 v8, v14, v9
	v_sub_f16_e32 v9, v9, v14
	v_fma_f16 v14, v1, v15, v17
	v_fma_f16 v17, -v1, v15, v17
	s_delay_alu instid0(VALU_DEP_3) | instskip(SKIP_1) | instid1(VALU_DEP_4)
	v_fma_f16 v18, v8, v15, v9
	v_fma_f16 v9, v8, v15, -v9
	v_fma_f16 v14, -v10, v8, v14
	s_delay_alu instid0(VALU_DEP_4) | instskip(NEXT) | instid1(VALU_DEP_4)
	v_fmac_f16_e32 v17, v10, v8
	v_fmac_f16_e32 v18, v1, v10
	s_delay_alu instid0(VALU_DEP_4) | instskip(NEXT) | instid1(VALU_DEP_2)
	v_fmac_f16_e32 v9, v1, v10
	v_pack_b32_f16 v1, v14, v18
	s_delay_alu instid0(VALU_DEP_2)
	v_pack_b32_f16 v8, v17, v9
	ds_store_b32 v16, v1 offset:1224
	ds_store_b32 v6, v8 offset:5712
	ds_load_b32 v1, v16 offset:1632
	ds_load_b32 v8, v6 offset:5304
	s_wait_loadcnt 0x3
	v_lshrrev_b32_e32 v14, 16, v11
	s_wait_dscnt 0x1
	v_lshrrev_b32_e32 v9, 16, v1
	s_wait_dscnt 0x0
	v_lshrrev_b32_e32 v10, 16, v8
	v_add_f16_e32 v15, v1, v8
	v_sub_f16_e32 v1, v1, v8
	s_delay_alu instid0(VALU_DEP_3) | instskip(SKIP_1) | instid1(VALU_DEP_3)
	v_add_f16_e32 v8, v10, v9
	v_sub_f16_e32 v9, v9, v10
	v_fma_f16 v10, v1, v14, v15
	v_fma_f16 v15, -v1, v14, v15
	s_delay_alu instid0(VALU_DEP_3) | instskip(SKIP_1) | instid1(VALU_DEP_4)
	v_fma_f16 v17, v8, v14, v9
	v_fma_f16 v9, v8, v14, -v9
	v_fma_f16 v10, -v11, v8, v10
	s_delay_alu instid0(VALU_DEP_4) | instskip(NEXT) | instid1(VALU_DEP_4)
	v_fmac_f16_e32 v15, v11, v8
	v_fmac_f16_e32 v17, v1, v11
	s_delay_alu instid0(VALU_DEP_4) | instskip(SKIP_2) | instid1(VALU_DEP_3)
	v_fmac_f16_e32 v9, v1, v11
	s_wait_loadcnt 0x2
	v_lshrrev_b32_e32 v11, 16, v12
	v_pack_b32_f16 v1, v10, v17
	s_delay_alu instid0(VALU_DEP_3)
	v_pack_b32_f16 v8, v15, v9
	ds_store_b32 v16, v1 offset:1632
	ds_store_b32 v6, v8 offset:5304
	ds_load_b32 v1, v16 offset:2040
	ds_load_b32 v8, v6 offset:4896
	s_wait_dscnt 0x1
	v_lshrrev_b32_e32 v9, 16, v1
	s_wait_dscnt 0x0
	v_lshrrev_b32_e32 v10, 16, v8
	v_add_f16_e32 v14, v1, v8
	v_sub_f16_e32 v1, v1, v8
	s_delay_alu instid0(VALU_DEP_3) | instskip(SKIP_1) | instid1(VALU_DEP_3)
	v_add_f16_e32 v8, v10, v9
	v_sub_f16_e32 v9, v9, v10
	v_fma_f16 v10, v1, v11, v14
	v_fma_f16 v14, -v1, v11, v14
	s_delay_alu instid0(VALU_DEP_3) | instskip(SKIP_1) | instid1(VALU_DEP_4)
	v_fma_f16 v15, v8, v11, v9
	v_fma_f16 v9, v8, v11, -v9
	v_fma_f16 v10, -v12, v8, v10
	s_delay_alu instid0(VALU_DEP_4) | instskip(SKIP_4) | instid1(VALU_DEP_2)
	v_fmac_f16_e32 v14, v12, v8
	s_wait_loadcnt 0x1
	v_lshrrev_b32_e32 v11, 16, v13
	v_fmac_f16_e32 v15, v1, v12
	v_fmac_f16_e32 v9, v1, v12
	v_pack_b32_f16 v1, v10, v15
	s_delay_alu instid0(VALU_DEP_2)
	v_pack_b32_f16 v8, v14, v9
	ds_store_b32 v16, v1 offset:2040
	ds_store_b32 v6, v8 offset:4896
	ds_load_b32 v1, v16 offset:2448
	ds_load_b32 v8, v6 offset:4488
	s_wait_dscnt 0x1
	v_lshrrev_b32_e32 v9, 16, v1
	s_wait_dscnt 0x0
	v_lshrrev_b32_e32 v10, 16, v8
	v_add_f16_e32 v12, v1, v8
	v_sub_f16_e32 v1, v1, v8
	s_delay_alu instid0(VALU_DEP_3) | instskip(SKIP_1) | instid1(VALU_DEP_3)
	v_add_f16_e32 v8, v10, v9
	v_sub_f16_e32 v9, v9, v10
	v_fma_f16 v10, v1, v11, v12
	v_fma_f16 v12, -v1, v11, v12
	s_delay_alu instid0(VALU_DEP_3) | instskip(SKIP_1) | instid1(VALU_DEP_4)
	v_fma_f16 v14, v8, v11, v9
	v_fma_f16 v9, v8, v11, -v9
	v_fma_f16 v10, -v13, v8, v10
	s_delay_alu instid0(VALU_DEP_4) | instskip(SKIP_4) | instid1(VALU_DEP_2)
	v_fmac_f16_e32 v12, v13, v8
	s_wait_loadcnt 0x0
	v_lshrrev_b32_e32 v11, 16, v7
	v_fmac_f16_e32 v14, v1, v13
	v_fmac_f16_e32 v9, v1, v13
	v_pack_b32_f16 v1, v10, v14
	s_delay_alu instid0(VALU_DEP_2)
	v_pack_b32_f16 v8, v12, v9
	ds_store_b32 v16, v1 offset:2448
	ds_store_b32 v6, v8 offset:4488
	ds_load_b32 v1, v16 offset:2856
	ds_load_b32 v8, v6 offset:4080
	s_wait_dscnt 0x1
	v_lshrrev_b32_e32 v9, 16, v1
	s_wait_dscnt 0x0
	v_lshrrev_b32_e32 v10, 16, v8
	v_add_f16_e32 v12, v1, v8
	v_sub_f16_e32 v1, v1, v8
	s_delay_alu instid0(VALU_DEP_3) | instskip(SKIP_1) | instid1(VALU_DEP_3)
	v_add_f16_e32 v8, v10, v9
	v_sub_f16_e32 v9, v9, v10
	v_fma_f16 v10, v1, v11, v12
	v_fma_f16 v12, -v1, v11, v12
	s_delay_alu instid0(VALU_DEP_3) | instskip(SKIP_1) | instid1(VALU_DEP_4)
	v_fma_f16 v13, v8, v11, v9
	v_fma_f16 v9, v8, v11, -v9
	v_fma_f16 v10, -v7, v8, v10
	s_delay_alu instid0(VALU_DEP_4) | instskip(NEXT) | instid1(VALU_DEP_4)
	v_fmac_f16_e32 v12, v7, v8
	v_fmac_f16_e32 v13, v1, v7
	s_delay_alu instid0(VALU_DEP_4) | instskip(NEXT) | instid1(VALU_DEP_2)
	v_fmac_f16_e32 v9, v1, v7
	v_pack_b32_f16 v1, v10, v13
	s_delay_alu instid0(VALU_DEP_2)
	v_pack_b32_f16 v7, v12, v9
	ds_store_b32 v16, v1 offset:2856
	ds_store_b32 v6, v7 offset:4080
	v_cmpx_gt_u32_e32 51, v0
	s_cbranch_execz .LBB0_19
; %bb.18:
	global_load_b32 v1, v[4:5], off offset:3264
	ds_load_b32 v4, v16 offset:3264
	ds_load_b32 v5, v6 offset:3672
	s_wait_dscnt 0x1
	v_lshrrev_b32_e32 v7, 16, v4
	s_wait_dscnt 0x0
	v_lshrrev_b32_e32 v8, 16, v5
	v_add_f16_e32 v9, v4, v5
	v_sub_f16_e32 v4, v4, v5
	s_delay_alu instid0(VALU_DEP_3) | instskip(SKIP_3) | instid1(VALU_DEP_1)
	v_add_f16_e32 v5, v8, v7
	v_sub_f16_e32 v7, v7, v8
	s_wait_loadcnt 0x0
	v_lshrrev_b32_e32 v10, 16, v1
	v_fma_f16 v8, v4, v10, v9
	s_delay_alu instid0(VALU_DEP_3) | instskip(SKIP_2) | instid1(VALU_DEP_4)
	v_fma_f16 v11, v5, v10, v7
	v_fma_f16 v9, -v4, v10, v9
	v_fma_f16 v7, v5, v10, -v7
	v_fma_f16 v8, -v1, v5, v8
	s_delay_alu instid0(VALU_DEP_4) | instskip(NEXT) | instid1(VALU_DEP_4)
	v_fmac_f16_e32 v11, v4, v1
	v_fmac_f16_e32 v9, v1, v5
	s_delay_alu instid0(VALU_DEP_4) | instskip(NEXT) | instid1(VALU_DEP_3)
	v_fmac_f16_e32 v7, v4, v1
	v_pack_b32_f16 v1, v8, v11
	s_delay_alu instid0(VALU_DEP_2)
	v_pack_b32_f16 v4, v9, v7
	ds_store_b32 v16, v1 offset:3264
	ds_store_b32 v6, v4 offset:3672
.LBB0_19:
	s_wait_alu 0xfffe
	s_or_b32 exec_lo, exec_lo, s1
	global_wb scope:SCOPE_SE
	s_wait_dscnt 0x0
	s_barrier_signal -1
	s_barrier_wait -1
	global_inv scope:SCOPE_SE
	global_wb scope:SCOPE_SE
	s_barrier_signal -1
	s_barrier_wait -1
	global_inv scope:SCOPE_SE
	ds_load_2addr_b32 v[24:25], v16 offset1:102
	v_add_nc_u32_e32 v14, 0x200, v16
	v_add_nc_u32_e32 v1, 0x400, v16
	;; [unrolled: 1-line block ×5, first 2 shown]
	ds_load_2addr_b32 v[26:27], v14 offset0:76 offset1:178
	ds_load_2addr_b32 v[10:11], v1 offset0:152 offset1:254
	;; [unrolled: 1-line block ×3, first 2 shown]
	ds_load_b32 v22, v16 offset:6528
	ds_load_2addr_b32 v[4:5], v18 offset0:48 offset1:150
	ds_load_2addr_b32 v[8:9], v15 offset0:124 offset1:226
	v_add_nc_u32_e32 v19, 0x1200, v16
	v_add_nc_u32_e32 v20, 0x1400, v16
	v_mad_u32_u24 v21, 0x44, v0, 0
	v_cmp_gt_u32_e64 s0, 0x55, v0
	s_wait_dscnt 0x6
	v_lshrrev_b32_e32 v30, 16, v24
	v_lshrrev_b32_e32 v31, 16, v25
	v_add_f16_e32 v12, v24, v25
	s_wait_dscnt 0x5
	v_lshrrev_b32_e32 v32, 16, v26
	s_delay_alu instid0(VALU_DEP_3)
	v_add_f16_e32 v13, v30, v31
	v_lshrrev_b32_e32 v33, 16, v27
	v_add_f16_e32 v23, v12, v26
	s_wait_dscnt 0x4
	v_lshrrev_b32_e32 v35, 16, v10
	s_wait_dscnt 0x2
	v_lshrrev_b32_e32 v37, 16, v22
	v_add_f16_e32 v34, v13, v32
	ds_load_2addr_b32 v[12:13], v19 offset0:72 offset1:174
	ds_load_2addr_b32 v[28:29], v20 offset0:148 offset1:250
	v_add_f16_e32 v36, v23, v27
	v_lshrrev_b32_e32 v23, 16, v11
	v_sub_f16_e32 v39, v31, v37
	v_add_f16_e32 v34, v34, v33
	v_add_f16_e32 v31, v37, v31
	;; [unrolled: 1-line block ×4, first 2 shown]
	v_sub_f16_e32 v25, v25, v22
	v_add_f16_e32 v34, v34, v35
	v_mul_f16_e32 v37, 0xb5c8, v39
	v_add_f16_e32 v36, v36, v11
	v_mul_f16_e32 v40, 0x3b76, v31
	v_mul_f16_e32 v41, 0xb964, v39
	v_add_f16_e32 v34, v34, v23
	v_mul_f16_e32 v42, 0x39e9, v31
	v_mul_f16_e32 v43, 0x3722, v31
	v_mul_f16_e32 v44, 0xbbf7, v39
	v_mul_f16_e32 v45, 0x2de8, v31
	v_pack_b32_f16 v34, v36, v34
	s_wait_dscnt 0x0
	v_lshrrev_b32_e32 v66, 16, v29
	v_mul_f16_e32 v36, 0xbb29, v39
	v_mul_f16_e32 v46, 0xbbb2, v39
	;; [unrolled: 1-line block ×3, first 2 shown]
	v_pk_add_f16 v34, v34, v6
	v_mul_f16_e32 v48, 0xba62, v39
	v_mul_f16_e32 v59, 0xb8d2, v31
	;; [unrolled: 1-line block ×4, first 2 shown]
	v_pk_add_f16 v34, v34, v7
	v_mul_f16_e32 v39, 0xb1e1, v39
	v_mul_f16_e32 v31, 0xbbdd, v31
	v_sub_f16_e32 v67, v32, v66
	v_add_f16_e32 v32, v66, v32
	v_pk_add_f16 v34, v34, v4
	v_fmamk_f16 v49, v38, 0x3b76, v37
	v_fmamk_f16 v50, v25, 0x35c8, v40
	v_fma_f16 v37, v38, 0x3b76, -v37
	v_fmac_f16_e32 v40, 0xb5c8, v25
	v_pk_add_f16 v34, v34, v5
	v_fmamk_f16 v51, v38, 0x39e9, v41
	v_fmamk_f16 v52, v25, 0x3964, v42
	v_fma_f16 v41, v38, 0x39e9, -v41
	v_fmac_f16_e32 v42, 0xb964, v25
	;; [unrolled: 5-line block ×5, first 2 shown]
	v_pk_add_f16 v34, v34, v13
	v_fmamk_f16 v60, v25, 0x3a62, v59
	v_fmac_f16_e32 v59, 0xba62, v25
	v_fmamk_f16 v63, v38, 0xbacd, v61
	v_fmamk_f16 v64, v25, 0x3836, v62
	v_pk_add_f16 v34, v34, v28
	v_fma_f16 v61, v38, 0xbacd, -v61
	v_fmac_f16_e32 v62, 0xb836, v25
	v_fmamk_f16 v65, v38, 0xbbdd, v39
	v_fmamk_f16 v68, v25, 0x31e1, v31
	v_pk_add_f16 v34, v34, v29
	v_mul_f16_e32 v66, 0xb964, v67
	v_fmac_f16_e32 v31, 0xb1e1, v25
	v_sub_f16_e32 v25, v26, v29
	v_add_f16_e32 v49, v24, v49
	v_pk_add_f16 v22, v34, v22
	v_fmamk_f16 v34, v38, 0xb8d2, v48
	v_fma_f16 v48, v38, 0xb8d2, -v48
	v_fma_f16 v38, v38, 0xbbdd, -v39
	v_add_f16_e32 v39, v29, v26
	v_mul_f16_e32 v26, 0x39e9, v32
	v_add_f16_e32 v50, v30, v50
	v_add_f16_e32 v37, v24, v37
	;; [unrolled: 1-line block ×29, first 2 shown]
	v_fmamk_f16 v68, v39, 0x39e9, v66
	v_add_f16_e32 v24, v24, v38
	v_add_f16_e32 v30, v30, v31
	v_fmamk_f16 v31, v25, 0x3964, v26
	v_mul_f16_e32 v38, 0xbbf7, v67
	v_fmac_f16_e32 v26, 0xb964, v25
	v_add_f16_e32 v49, v68, v49
	v_fma_f16 v66, v39, 0x39e9, -v66
	v_add_f16_e32 v31, v31, v50
	v_fmamk_f16 v50, v39, 0x2de8, v38
	v_mul_f16_e32 v68, 0x2de8, v32
	v_add_f16_e32 v26, v26, v40
	v_mul_f16_e32 v40, 0xba62, v67
	v_add_f16_e32 v37, v66, v37
	v_add_f16_e32 v50, v50, v51
	v_fmamk_f16 v51, v25, 0x3bf7, v68
	v_fma_f16 v38, v39, 0x2de8, -v38
	v_fmac_f16_e32 v68, 0xbbf7, v25
	v_fmamk_f16 v66, v39, 0xb8d2, v40
	v_mul_f16_e32 v69, 0xb8d2, v32
	v_add_f16_e32 v51, v51, v52
	v_add_f16_e32 v38, v38, v41
	;; [unrolled: 1-line block ×4, first 2 shown]
	v_fmamk_f16 v52, v25, 0x3a62, v69
	v_mul_f16_e32 v53, 0xb1e1, v67
	v_fma_f16 v40, v39, 0xb8d2, -v40
	v_fmac_f16_e32 v69, 0xba62, v25
	v_mul_f16_e32 v66, 0xbbdd, v32
	v_add_f16_e32 v52, v52, v54
	v_fmamk_f16 v54, v39, 0xbbdd, v53
	v_add_f16_e32 v36, v40, v36
	v_add_f16_e32 v40, v69, v43
	v_fmamk_f16 v43, v25, 0x31e1, v66
	v_mul_f16_e32 v68, 0x3836, v67
	v_add_f16_e32 v54, v54, v55
	v_fma_f16 v53, v39, 0xbbdd, -v53
	v_fmac_f16_e32 v66, 0xb1e1, v25
	v_add_f16_e32 v43, v43, v56
	v_fmamk_f16 v55, v39, 0xbacd, v68
	v_mul_f16_e32 v56, 0xbacd, v32
	v_add_f16_e32 v44, v53, v44
	v_add_f16_e32 v45, v66, v45
	v_mul_f16_e32 v53, 0x3bb2, v67
	v_add_f16_e32 v55, v55, v57
	v_fmamk_f16 v57, v25, 0xb836, v56
	v_fma_f16 v66, v39, 0xbacd, -v68
	v_fmac_f16_e32 v56, 0x3836, v25
	v_mul_f16_e32 v69, 0xb461, v32
	v_fmamk_f16 v68, v39, 0xb461, v53
	v_add_f16_e32 v57, v57, v58
	v_add_f16_e32 v46, v66, v46
	;; [unrolled: 1-line block ×3, first 2 shown]
	v_fmamk_f16 v56, v25, 0xbbb2, v69
	v_mul_f16_e32 v58, 0x3b29, v67
	v_mul_f16_e32 v66, 0x3722, v32
	v_fma_f16 v53, v39, 0xb461, -v53
	v_fmac_f16_e32 v69, 0x3bb2, v25
	v_add_f16_e32 v34, v68, v34
	v_add_f16_e32 v56, v56, v60
	v_fmamk_f16 v60, v39, 0x3722, v58
	v_fmamk_f16 v68, v25, 0xbb29, v66
	v_add_f16_e32 v48, v53, v48
	v_add_f16_e32 v53, v69, v59
	v_mul_f16_e32 v59, 0x35c8, v67
	v_add_f16_e32 v60, v60, v63
	v_add_f16_e32 v63, v68, v64
	v_fma_f16 v58, v39, 0x3722, -v58
	v_fmac_f16_e32 v66, 0x3b29, v25
	v_fmamk_f16 v64, v39, 0x3b76, v59
	v_lshrrev_b32_e32 v67, 16, v28
	v_mul_f16_e32 v32, 0x3b76, v32
	v_add_f16_e32 v58, v58, v61
	v_add_f16_e32 v61, v66, v62
	;; [unrolled: 1-line block ×3, first 2 shown]
	v_sub_f16_e32 v64, v33, v67
	v_add_f16_e32 v33, v67, v33
	v_fmamk_f16 v65, v25, 0xb5c8, v32
	v_fma_f16 v39, v39, 0x3b76, -v59
	v_add_f16_e32 v59, v28, v27
	v_mul_f16_e32 v66, 0xbb29, v64
	v_fmac_f16_e32 v32, 0x35c8, v25
	v_sub_f16_e32 v25, v27, v28
	v_mul_f16_e32 v27, 0x3722, v33
	v_add_f16_e32 v28, v65, v29
	v_fmamk_f16 v29, v59, 0x3722, v66
	v_add_f16_e32 v24, v39, v24
	v_add_f16_e32 v30, v32, v30
	v_fmamk_f16 v32, v25, 0x3b29, v27
	v_mul_f16_e32 v39, 0xba62, v64
	v_fmac_f16_e32 v27, 0xbb29, v25
	v_add_f16_e32 v29, v29, v49
	v_fma_f16 v49, v59, 0x3722, -v66
	v_add_f16_e32 v31, v32, v31
	v_fmamk_f16 v32, v59, 0xb8d2, v39
	v_mul_f16_e32 v65, 0xb8d2, v33
	v_add_f16_e32 v26, v27, v26
	v_mul_f16_e32 v27, 0x31e1, v64
	v_add_f16_e32 v37, v49, v37
	v_add_f16_e32 v32, v32, v50
	v_fmamk_f16 v49, v25, 0x3a62, v65
	v_fma_f16 v39, v59, 0xb8d2, -v39
	v_fmac_f16_e32 v65, 0xba62, v25
	v_fmamk_f16 v50, v59, 0xbbdd, v27
	v_mul_f16_e32 v66, 0xbbdd, v33
	v_add_f16_e32 v49, v49, v51
	v_add_f16_e32 v38, v39, v38
	;; [unrolled: 1-line block ×4, first 2 shown]
	v_fmamk_f16 v42, v25, 0xb1e1, v66
	v_mul_f16_e32 v50, 0x3bb2, v64
	v_fma_f16 v27, v59, 0xbbdd, -v27
	v_fmac_f16_e32 v66, 0x31e1, v25
	v_mul_f16_e32 v51, 0xb461, v33
	v_add_f16_e32 v42, v42, v52
	v_fmamk_f16 v52, v59, 0xb461, v50
	v_add_f16_e32 v27, v27, v36
	v_add_f16_e32 v36, v66, v40
	v_fmamk_f16 v40, v25, 0xbbb2, v51
	v_mul_f16_e32 v65, 0x3964, v64
	v_add_f16_e32 v52, v52, v54
	v_fma_f16 v50, v59, 0xb461, -v50
	v_fmac_f16_e32 v51, 0x3bb2, v25
	v_add_f16_e32 v40, v40, v43
	v_fmamk_f16 v43, v59, 0x39e9, v65
	v_mul_f16_e32 v54, 0x39e9, v33
	v_add_f16_e32 v44, v50, v44
	v_add_f16_e32 v45, v51, v45
	v_mul_f16_e32 v50, 0xb5c8, v64
	v_add_f16_e32 v43, v43, v55
	v_fmamk_f16 v51, v25, 0xb964, v54
	v_fma_f16 v55, v59, 0x39e9, -v65
	v_fmac_f16_e32 v54, 0x3964, v25
	v_mul_f16_e32 v66, 0x3b76, v33
	v_fmamk_f16 v65, v59, 0x3b76, v50
	v_add_f16_e32 v51, v51, v57
	v_add_f16_e32 v46, v55, v46
	;; [unrolled: 1-line block ×3, first 2 shown]
	v_fmamk_f16 v54, v25, 0x35c8, v66
	v_mul_f16_e32 v55, 0xbbf7, v64
	v_mul_f16_e32 v57, 0x2de8, v33
	v_fma_f16 v50, v59, 0x3b76, -v50
	v_fmac_f16_e32 v66, 0xb5c8, v25
	v_add_f16_e32 v34, v65, v34
	v_add_f16_e32 v54, v54, v56
	v_fmamk_f16 v56, v59, 0x2de8, v55
	v_fmamk_f16 v65, v25, 0x3bf7, v57
	v_add_f16_e32 v48, v50, v48
	v_add_f16_e32 v50, v66, v53
	v_mul_f16_e32 v53, 0xb836, v64
	v_fmac_f16_e32 v57, 0xbbf7, v25
	v_lshrrev_b32_e32 v64, 16, v13
	v_add_f16_e32 v56, v56, v60
	v_add_f16_e32 v60, v65, v63
	v_fma_f16 v55, v59, 0x2de8, -v55
	v_fmamk_f16 v63, v59, 0xbacd, v53
	v_mul_f16_e32 v33, 0xbacd, v33
	v_add_f16_e32 v57, v57, v61
	v_sub_f16_e32 v61, v35, v64
	v_add_f16_e32 v35, v64, v35
	v_add_f16_e32 v55, v55, v58
	;; [unrolled: 1-line block ×3, first 2 shown]
	v_fmamk_f16 v62, v25, 0x3836, v33
	v_fma_f16 v53, v59, 0xbacd, -v53
	v_add_f16_e32 v59, v13, v10
	v_mul_f16_e32 v63, 0xbbf7, v61
	v_fmac_f16_e32 v33, 0xb836, v25
	v_sub_f16_e32 v10, v10, v13
	v_mul_f16_e32 v13, 0x2de8, v35
	v_add_f16_e32 v25, v62, v28
	v_fmamk_f16 v28, v59, 0x2de8, v63
	v_add_f16_e32 v24, v53, v24
	v_add_f16_e32 v30, v33, v30
	v_fmamk_f16 v33, v10, 0x3bf7, v13
	v_mul_f16_e32 v53, 0xb1e1, v61
	v_fmac_f16_e32 v13, 0xbbf7, v10
	v_add_f16_e32 v28, v28, v29
	v_fma_f16 v29, v59, 0x2de8, -v63
	v_add_f16_e32 v31, v33, v31
	v_fmamk_f16 v33, v59, 0xbbdd, v53
	v_mul_f16_e32 v62, 0xbbdd, v35
	v_add_f16_e32 v13, v13, v26
	v_mul_f16_e32 v26, 0x3bb2, v61
	v_add_f16_e32 v29, v29, v37
	v_add_f16_e32 v32, v33, v32
	v_fmamk_f16 v33, v10, 0x31e1, v62
	v_fma_f16 v37, v59, 0xbbdd, -v53
	v_fmac_f16_e32 v62, 0xb1e1, v10
	v_fmamk_f16 v53, v59, 0xb461, v26
	v_mul_f16_e32 v63, 0xb461, v35
	v_add_f16_e32 v33, v33, v49
	v_add_f16_e32 v37, v37, v38
	;; [unrolled: 1-line block ×4, first 2 shown]
	v_fmamk_f16 v41, v10, 0xbbb2, v63
	v_mul_f16_e32 v49, 0x35c8, v61
	v_fma_f16 v26, v59, 0xb461, -v26
	v_fmac_f16_e32 v63, 0x3bb2, v10
	v_mul_f16_e32 v53, 0x3b76, v35
	v_add_f16_e32 v41, v41, v42
	v_fmamk_f16 v42, v59, 0x3b76, v49
	v_add_f16_e32 v26, v26, v27
	v_add_f16_e32 v27, v63, v36
	v_fmamk_f16 v36, v10, 0xb5c8, v53
	v_mul_f16_e32 v62, 0xbb29, v61
	v_add_f16_e32 v42, v42, v52
	v_fma_f16 v49, v59, 0x3b76, -v49
	v_fmac_f16_e32 v53, 0x35c8, v10
	v_add_f16_e32 v36, v36, v40
	v_fmamk_f16 v40, v59, 0x3722, v62
	v_mul_f16_e32 v52, 0x3722, v35
	v_add_f16_e32 v44, v49, v44
	v_add_f16_e32 v45, v53, v45
	v_mul_f16_e32 v49, 0xb836, v61
	v_add_f16_e32 v40, v40, v43
	v_fmamk_f16 v43, v10, 0x3b29, v52
	v_fma_f16 v53, v59, 0x3722, -v62
	v_fmac_f16_e32 v52, 0xbb29, v10
	v_mul_f16_e32 v63, 0xbacd, v35
	v_fmamk_f16 v62, v59, 0xbacd, v49
	v_add_f16_e32 v43, v43, v51
	v_add_f16_e32 v46, v53, v46
	v_add_f16_e32 v47, v52, v47
	v_fmamk_f16 v51, v10, 0x3836, v63
	v_mul_f16_e32 v52, 0x3a62, v61
	v_mul_f16_e32 v53, 0xb8d2, v35
	v_fma_f16 v49, v59, 0xbacd, -v49
	v_fmac_f16_e32 v63, 0xb836, v10
	v_add_f16_e32 v34, v62, v34
	v_add_f16_e32 v51, v51, v54
	v_fmamk_f16 v54, v59, 0xb8d2, v52
	v_fmamk_f16 v62, v10, 0xba62, v53
	v_add_f16_e32 v48, v49, v48
	v_add_f16_e32 v49, v63, v50
	v_mul_f16_e32 v50, 0x3964, v61
	v_fmac_f16_e32 v53, 0x3a62, v10
	v_lshrrev_b32_e32 v61, 16, v12
	v_add_f16_e32 v54, v54, v56
	v_add_f16_e32 v56, v62, v60
	v_fma_f16 v52, v59, 0xb8d2, -v52
	v_fmamk_f16 v60, v59, 0x39e9, v50
	v_mul_f16_e32 v35, 0x39e9, v35
	v_add_f16_e32 v53, v53, v57
	v_sub_f16_e32 v57, v23, v61
	v_add_f16_e32 v23, v61, v23
	v_add_f16_e32 v52, v52, v55
	;; [unrolled: 1-line block ×3, first 2 shown]
	v_fmamk_f16 v58, v10, 0xb964, v35
	v_fma_f16 v50, v59, 0x39e9, -v50
	v_add_f16_e32 v59, v12, v11
	v_mul_f16_e32 v60, 0xbbb2, v57
	v_fmac_f16_e32 v35, 0x3964, v10
	v_sub_f16_e32 v10, v11, v12
	v_mul_f16_e32 v11, 0xb461, v23
	v_add_f16_e32 v12, v58, v25
	v_fmamk_f16 v25, v59, 0xb461, v60
	v_add_f16_e32 v24, v50, v24
	v_add_f16_e32 v30, v35, v30
	v_fmamk_f16 v35, v10, 0x3bb2, v11
	v_mul_f16_e32 v50, 0x3836, v57
	v_fmac_f16_e32 v11, 0xbbb2, v10
	v_add_f16_e32 v25, v25, v28
	v_fma_f16 v28, v59, 0xb461, -v60
	v_add_f16_e32 v31, v35, v31
	v_fmamk_f16 v35, v59, 0xbacd, v50
	v_mul_f16_e32 v58, 0xbacd, v23
	v_add_f16_e32 v11, v11, v13
	v_mul_f16_e32 v13, 0x3964, v57
	v_add_f16_e32 v28, v28, v29
	v_add_f16_e32 v29, v35, v32
	v_fmamk_f16 v32, v10, 0xb836, v58
	v_fma_f16 v35, v59, 0xbacd, -v50
	v_fmac_f16_e32 v58, 0x3836, v10
	v_fmamk_f16 v50, v59, 0x39e9, v13
	v_mul_f16_e32 v60, 0x39e9, v23
	v_add_f16_e32 v32, v32, v33
	v_add_f16_e32 v33, v35, v37
	;; [unrolled: 1-line block ×4, first 2 shown]
	v_fmamk_f16 v38, v10, 0xb964, v60
	v_mul_f16_e32 v39, 0xbb29, v57
	v_fma_f16 v13, v59, 0x39e9, -v13
	v_fmac_f16_e32 v60, 0x3964, v10
	v_mul_f16_e32 v50, 0x3722, v23
	v_add_f16_e32 v38, v38, v41
	v_fmamk_f16 v41, v59, 0x3722, v39
	v_add_f16_e32 v13, v13, v26
	v_add_f16_e32 v26, v60, v27
	v_fmamk_f16 v27, v10, 0x3b29, v50
	v_mul_f16_e32 v58, 0xb1e1, v57
	v_add_f16_e32 v41, v41, v42
	v_fma_f16 v39, v59, 0x3722, -v39
	v_fmac_f16_e32 v50, 0xbb29, v10
	v_add_f16_e32 v27, v27, v36
	v_fmamk_f16 v36, v59, 0xbbdd, v58
	v_mul_f16_e32 v42, 0xbbdd, v23
	v_add_f16_e32 v39, v39, v44
	v_add_f16_e32 v44, v50, v45
	v_mul_f16_e32 v45, 0x3bf7, v57
	v_add_f16_e32 v36, v36, v40
	v_fmamk_f16 v40, v10, 0x31e1, v42
	v_fma_f16 v50, v59, 0xbbdd, -v58
	v_fmac_f16_e32 v42, 0xb1e1, v10
	v_mul_f16_e32 v60, 0x2de8, v23
	v_fmamk_f16 v58, v59, 0x2de8, v45
	v_add_f16_e32 v40, v40, v43
	v_add_f16_e32 v43, v50, v46
	;; [unrolled: 1-line block ×3, first 2 shown]
	v_fmamk_f16 v46, v10, 0xbbf7, v60
	v_mul_f16_e32 v47, 0xb5c8, v57
	v_mul_f16_e32 v50, 0x3b76, v23
	v_fma_f16 v45, v59, 0x2de8, -v45
	v_fmac_f16_e32 v60, 0x3bf7, v10
	v_add_f16_e32 v34, v58, v34
	v_add_f16_e32 v46, v46, v51
	v_fmamk_f16 v51, v59, 0x3b76, v47
	v_fmamk_f16 v58, v10, 0x35c8, v50
	v_add_f16_e32 v45, v45, v48
	v_add_f16_e32 v48, v60, v49
	v_mul_f16_e32 v49, 0xba62, v57
	v_add_f16_e32 v51, v51, v54
	v_add_f16_e32 v54, v58, v56
	v_fma_f16 v47, v59, 0x3b76, -v47
	v_fmac_f16_e32 v50, 0xb5c8, v10
	v_fmamk_f16 v56, v59, 0xb8d2, v49
	v_lshrrev_b32_e32 v57, 16, v9
	v_lshrrev_b32_e32 v58, 16, v6
	v_mul_f16_e32 v23, 0xb8d2, v23
	v_add_f16_e32 v47, v47, v52
	v_add_f16_e32 v50, v50, v53
	;; [unrolled: 1-line block ×3, first 2 shown]
	v_sub_f16_e32 v53, v58, v57
	v_add_f16_e32 v56, v57, v58
	v_fmamk_f16 v55, v10, 0x3a62, v23
	v_fma_f16 v49, v59, 0xb8d2, -v49
	v_add_f16_e32 v57, v9, v6
	v_mul_f16_e32 v58, 0xba62, v53
	v_fmac_f16_e32 v23, 0xba62, v10
	v_sub_f16_e32 v6, v6, v9
	v_mul_f16_e32 v9, 0xb8d2, v56
	v_add_f16_e32 v10, v55, v12
	v_fmamk_f16 v12, v57, 0xb8d2, v58
	v_add_f16_e32 v24, v49, v24
	v_add_f16_e32 v23, v23, v30
	v_fmamk_f16 v30, v6, 0x3a62, v9
	v_mul_f16_e32 v49, 0x3bb2, v53
	v_fmac_f16_e32 v9, 0xba62, v6
	v_add_f16_e32 v12, v12, v25
	v_fma_f16 v25, v57, 0xb8d2, -v58
	v_add_f16_e32 v30, v30, v31
	v_fmamk_f16 v31, v57, 0xb461, v49
	v_mul_f16_e32 v55, 0xb461, v56
	v_add_f16_e32 v9, v9, v11
	v_mul_f16_e32 v11, 0xb5c8, v53
	v_add_f16_e32 v25, v25, v28
	v_add_f16_e32 v28, v31, v29
	v_fmamk_f16 v29, v6, 0xbbb2, v55
	v_fma_f16 v31, v57, 0xb461, -v49
	v_fmac_f16_e32 v55, 0x3bb2, v6
	v_fmamk_f16 v49, v57, 0x3b76, v11
	v_mul_f16_e32 v58, 0x3b76, v56
	v_add_f16_e32 v29, v29, v32
	v_add_f16_e32 v31, v31, v33
	v_add_f16_e32 v32, v55, v35
	v_add_f16_e32 v33, v49, v37
	v_fmamk_f16 v35, v6, 0x35c8, v58
	v_mul_f16_e32 v37, 0xb836, v53
	v_fma_f16 v11, v57, 0x3b76, -v11
	v_fmac_f16_e32 v58, 0xb5c8, v6
	v_mul_f16_e32 v49, 0xbacd, v56
	v_add_f16_e32 v35, v35, v38
	v_fmamk_f16 v38, v57, 0xbacd, v37
	v_add_f16_e32 v11, v11, v13
	v_add_f16_e32 v13, v58, v26
	v_fmamk_f16 v26, v6, 0x3836, v49
	v_mul_f16_e32 v55, 0x3bf7, v53
	v_add_f16_e32 v38, v38, v41
	v_fma_f16 v37, v57, 0xbacd, -v37
	v_fmac_f16_e32 v49, 0xb836, v6
	v_add_f16_e32 v26, v26, v27
	v_fmamk_f16 v27, v57, 0x2de8, v55
	v_mul_f16_e32 v41, 0x2de8, v56
	v_add_f16_e32 v37, v37, v39
	v_add_f16_e32 v39, v49, v44
	v_mul_f16_e32 v44, 0xb964, v53
	v_add_f16_e32 v27, v27, v36
	v_fmamk_f16 v36, v6, 0xbbf7, v41
	v_fma_f16 v49, v57, 0x2de8, -v55
	v_fmac_f16_e32 v41, 0x3bf7, v6
	v_mul_f16_e32 v58, 0x39e9, v56
	v_fmamk_f16 v55, v57, 0x39e9, v44
	v_add_f16_e32 v36, v36, v40
	v_add_f16_e32 v40, v49, v43
	;; [unrolled: 1-line block ×3, first 2 shown]
	v_fmamk_f16 v42, v6, 0x3964, v58
	v_mul_f16_e32 v43, 0xb1e1, v53
	v_mul_f16_e32 v49, 0xbbdd, v56
	v_fma_f16 v44, v57, 0x39e9, -v44
	v_fmac_f16_e32 v58, 0xb964, v6
	v_add_f16_e32 v34, v55, v34
	v_add_f16_e32 v42, v42, v46
	v_fmamk_f16 v46, v57, 0xbbdd, v43
	v_fmamk_f16 v55, v6, 0x31e1, v49
	v_add_f16_e32 v44, v44, v45
	v_add_f16_e32 v45, v58, v48
	v_mul_f16_e32 v48, 0x3b29, v53
	v_add_f16_e32 v46, v46, v51
	v_add_f16_e32 v51, v55, v54
	v_fma_f16 v43, v57, 0xbbdd, -v43
	v_fmac_f16_e32 v49, 0xb1e1, v6
	v_fmamk_f16 v53, v57, 0x3722, v48
	v_lshrrev_b32_e32 v54, 16, v7
	v_lshrrev_b32_e32 v55, 16, v8
	v_mul_f16_e32 v56, 0x3722, v56
	v_add_f16_e32 v43, v43, v47
	v_add_f16_e32 v47, v49, v50
	;; [unrolled: 1-line block ×3, first 2 shown]
	v_sub_f16_e32 v50, v54, v55
	v_add_f16_e32 v53, v55, v54
	v_fmamk_f16 v52, v6, 0xbb29, v56
	v_fma_f16 v48, v57, 0x3722, -v48
	v_add_f16_e32 v54, v8, v7
	v_mul_f16_e32 v55, 0xb836, v50
	v_fmac_f16_e32 v56, 0x3b29, v6
	v_sub_f16_e32 v6, v7, v8
	v_mul_f16_e32 v7, 0xbacd, v53
	v_add_f16_e32 v8, v52, v10
	v_fmamk_f16 v10, v54, 0xbacd, v55
	v_add_f16_e32 v24, v48, v24
	v_mul_f16_e32 v52, 0x3b29, v50
	v_fmamk_f16 v48, v6, 0x3836, v7
	v_fmac_f16_e32 v7, 0xb836, v6
	v_add_f16_e32 v10, v10, v12
	v_fma_f16 v12, v54, 0xbacd, -v55
	v_mul_f16_e32 v55, 0x3722, v53
	v_add_f16_e32 v30, v48, v30
	v_fmamk_f16 v48, v54, 0x3722, v52
	v_add_f16_e32 v7, v7, v9
	v_mul_f16_e32 v9, 0xbbf7, v50
	v_add_f16_e32 v23, v56, v23
	v_add_f16_e32 v12, v12, v25
	;; [unrolled: 1-line block ×3, first 2 shown]
	v_fmamk_f16 v28, v6, 0xbb29, v55
	v_fma_f16 v48, v54, 0x3722, -v52
	v_fmac_f16_e32 v55, 0x3b29, v6
	v_fmamk_f16 v52, v54, 0x2de8, v9
	v_mul_f16_e32 v56, 0x2de8, v53
	v_add_f16_e32 v28, v28, v29
	v_add_f16_e32 v29, v48, v31
	;; [unrolled: 1-line block ×4, first 2 shown]
	v_fmamk_f16 v33, v6, 0x3bf7, v56
	v_mul_f16_e32 v48, 0x3a62, v50
	v_fma_f16 v9, v54, 0x2de8, -v9
	v_fmac_f16_e32 v56, 0xbbf7, v6
	v_mul_f16_e32 v52, 0xb8d2, v53
	v_add_f16_e32 v33, v33, v35
	v_fmamk_f16 v35, v54, 0xb8d2, v48
	v_add_f16_e32 v9, v9, v11
	v_add_f16_e32 v11, v56, v13
	v_fmamk_f16 v13, v6, 0xba62, v52
	v_mul_f16_e32 v55, 0xb5c8, v50
	v_add_f16_e32 v35, v35, v38
	v_fma_f16 v38, v54, 0xb8d2, -v48
	v_fmac_f16_e32 v52, 0x3a62, v6
	v_add_f16_e32 v13, v13, v26
	v_fmamk_f16 v26, v54, 0x3b76, v55
	v_mul_f16_e32 v48, 0x3b76, v53
	v_add_f16_e32 v37, v38, v37
	v_add_f16_e32 v38, v52, v39
	v_mul_f16_e32 v39, 0xb1e1, v50
	v_add_f16_e32 v26, v26, v27
	v_fmamk_f16 v27, v6, 0x35c8, v48
	v_fma_f16 v52, v54, 0x3b76, -v55
	v_fmac_f16_e32 v48, 0xb5c8, v6
	v_mul_f16_e32 v56, 0xbbdd, v53
	v_fmamk_f16 v55, v54, 0xbbdd, v39
	v_add_f16_e32 v27, v27, v36
	v_add_f16_e32 v36, v52, v40
	;; [unrolled: 1-line block ×3, first 2 shown]
	v_fmamk_f16 v41, v6, 0x31e1, v56
	v_mul_f16_e32 v48, 0x3964, v50
	v_mul_f16_e32 v52, 0x39e9, v53
	v_fma_f16 v39, v54, 0xbbdd, -v39
	v_fmac_f16_e32 v56, 0xb1e1, v6
	v_add_f16_e32 v34, v55, v34
	v_add_f16_e32 v41, v41, v42
	v_fmamk_f16 v42, v54, 0x39e9, v48
	v_fmamk_f16 v55, v6, 0xb964, v52
	v_add_f16_e32 v39, v39, v44
	v_add_f16_e32 v44, v56, v45
	v_mul_f16_e32 v45, 0xbbb2, v50
	v_add_f16_e32 v42, v42, v46
	v_add_f16_e32 v46, v55, v51
	v_fma_f16 v48, v54, 0x39e9, -v48
	v_lshrrev_b32_e32 v51, 16, v4
	v_fmamk_f16 v50, v54, 0xb461, v45
	v_lshrrev_b32_e32 v55, 16, v5
	v_fmac_f16_e32 v52, 0x3964, v6
	v_mul_f16_e32 v53, 0xb461, v53
	v_add_f16_e32 v43, v48, v43
	v_add_f16_e32 v48, v50, v49
	v_sub_f16_e32 v49, v51, v55
	v_add_f16_e32 v51, v55, v51
	v_add_f16_e32 v47, v52, v47
	v_fmamk_f16 v50, v6, 0x3bb2, v53
	v_fma_f16 v45, v54, 0xb461, -v45
	v_add_f16_e32 v52, v5, v4
	v_mul_f16_e32 v54, 0xb1e1, v49
	v_sub_f16_e32 v4, v4, v5
	v_mul_f16_e32 v5, 0xbbdd, v51
	v_fmac_f16_e32 v53, 0xbbb2, v6
	v_add_f16_e32 v6, v50, v8
	v_fmamk_f16 v8, v52, 0xbbdd, v54
	v_add_f16_e32 v24, v45, v24
	v_fmamk_f16 v45, v4, 0x31e1, v5
	v_mul_f16_e32 v50, 0x35c8, v49
	v_fmac_f16_e32 v5, 0xb1e1, v4
	v_add_f16_e32 v23, v53, v23
	v_add_f16_e32 v8, v8, v10
	v_fma_f16 v10, v52, 0xbbdd, -v54
	v_add_f16_e32 v30, v45, v30
	v_fmamk_f16 v45, v52, 0x3b76, v50
	v_mul_f16_e32 v53, 0x3b76, v51
	v_add_f16_e32 v5, v5, v7
	v_mul_f16_e32 v7, 0xb836, v49
	v_add_f16_e32 v10, v10, v12
	v_add_f16_e32 v12, v45, v25
	v_fmamk_f16 v25, v4, 0xb5c8, v53
	v_fma_f16 v45, v52, 0x3b76, -v50
	v_fmac_f16_e32 v53, 0x35c8, v4
	v_fmamk_f16 v50, v52, 0xbacd, v7
	v_mul_f16_e32 v54, 0xbacd, v51
	v_add_f16_e32 v25, v25, v28
	v_add_f16_e32 v28, v45, v29
	;; [unrolled: 1-line block ×4, first 2 shown]
	v_fmamk_f16 v32, v4, 0x3836, v54
	v_mul_f16_e32 v45, 0x3964, v49
	v_fma_f16 v7, v52, 0xbacd, -v7
	v_fmac_f16_e32 v54, 0xb836, v4
	v_mul_f16_e32 v50, 0x39e9, v51
	v_add_f16_e32 v32, v32, v33
	v_fmamk_f16 v33, v52, 0x39e9, v45
	v_add_f16_e32 v7, v7, v9
	v_add_f16_e32 v9, v54, v11
	v_fmamk_f16 v11, v4, 0xb964, v50
	v_mul_f16_e32 v53, 0xba62, v49
	v_add_f16_e32 v33, v33, v35
	v_fma_f16 v35, v52, 0x39e9, -v45
	v_fmac_f16_e32 v50, 0x3964, v4
	v_add_f16_e32 v11, v11, v13
	v_fmamk_f16 v13, v52, 0xb8d2, v53
	v_mul_f16_e32 v45, 0xb8d2, v51
	v_add_f16_e32 v35, v35, v37
	v_add_f16_e32 v37, v50, v38
	v_fma_f16 v50, v52, 0xb8d2, -v53
	v_add_f16_e32 v13, v13, v26
	v_fmamk_f16 v26, v4, 0x3a62, v45
	v_fmac_f16_e32 v45, 0xba62, v4
	v_mul_f16_e32 v54, 0x3722, v51
	v_mul_f16_e32 v38, 0x3b29, v49
	v_pack_b32_f16 v8, v8, v30
	v_add_f16_e32 v26, v26, v27
	v_add_f16_e32 v27, v50, v36
	;; [unrolled: 1-line block ×3, first 2 shown]
	v_fmamk_f16 v40, v4, 0xbb29, v54
	v_mul_f16_e32 v45, 0xbbb2, v49
	v_fmamk_f16 v53, v52, 0x3722, v38
	v_fma_f16 v38, v52, 0x3722, -v38
	v_fmac_f16_e32 v54, 0x3b29, v4
	v_mul_f16_e32 v50, 0xb461, v51
	v_add_f16_e32 v40, v40, v41
	v_fmamk_f16 v41, v52, 0xb461, v45
	v_add_f16_e32 v38, v38, v39
	v_add_f16_e32 v39, v54, v44
	v_fmamk_f16 v44, v4, 0x3bb2, v50
	v_fmac_f16_e32 v50, 0xbbb2, v4
	v_add_f16_e32 v41, v41, v42
	v_mul_f16_e32 v42, 0x3bf7, v49
	v_mul_f16_e32 v49, 0x2de8, v51
	v_add_f16_e32 v44, v44, v46
	v_add_f16_e32 v34, v53, v34
	v_pack_b32_f16 v30, v31, v32
	v_pack_b32_f16 v12, v12, v25
	v_fmamk_f16 v46, v4, 0xbbf7, v49
	v_fmac_f16_e32 v49, 0x3bf7, v4
	v_and_b32_e32 v4, 0xff, v0
	v_pack_b32_f16 v13, v13, v26
	v_pack_b32_f16 v11, v33, v11
	;; [unrolled: 1-line block ×4, first 2 shown]
	v_mul_lo_u16 v4, 0xf1, v4
	v_fma_f16 v45, v52, 0xb461, -v45
	global_wb scope:SCOPE_SE
	s_barrier_signal -1
	s_barrier_wait -1
	v_lshrrev_b16 v4, 12, v4
	global_inv scope:SCOPE_SE
	ds_store_2addr_b32 v21, v22, v8 offset1:1
	ds_store_2addr_b32 v21, v12, v30 offset0:2 offset1:3
	ds_store_2addr_b32 v21, v11, v13 offset0:4 offset1:5
	;; [unrolled: 1-line block ×3, first 2 shown]
	v_add_f16_e32 v43, v45, v43
	v_fmamk_f16 v45, v52, 0x2de8, v42
	v_mul_lo_u16 v11, v4, 17
	v_fma_f16 v42, v52, 0x2de8, -v42
	v_add_f16_e32 v6, v46, v6
	v_add_f16_e32 v23, v49, v23
	;; [unrolled: 1-line block ×3, first 2 shown]
	v_sub_nc_u16 v11, v0, v11
	v_add_f16_e32 v24, v42, v24
	v_pack_b32_f16 v7, v7, v9
	v_pack_b32_f16 v9, v10, v5
	v_add_f16_e32 v47, v50, v47
	v_and_b32_e32 v5, 0xff, v11
	v_pack_b32_f16 v8, v24, v23
	v_pack_b32_f16 v6, v45, v6
	;; [unrolled: 1-line block ×4, first 2 shown]
	v_lshlrev_b32_e32 v10, 6, v5
	v_pack_b32_f16 v22, v35, v37
	v_pack_b32_f16 v23, v27, v36
	;; [unrolled: 1-line block ×3, first 2 shown]
	ds_store_2addr_b32 v21, v6, v8 offset0:8 offset1:9
	ds_store_2addr_b32 v21, v13, v12 offset0:10 offset1:11
	;; [unrolled: 1-line block ×4, first 2 shown]
	ds_store_b32 v21, v9 offset:64
	global_wb scope:SCOPE_SE
	s_wait_dscnt 0x0
	s_barrier_signal -1
	s_barrier_wait -1
	global_inv scope:SCOPE_SE
	s_clause 0x3
	global_load_b128 v[6:9], v10, s[4:5]
	global_load_b128 v[29:32], v10, s[4:5] offset:16
	global_load_b128 v[33:36], v10, s[4:5] offset:32
	;; [unrolled: 1-line block ×3, first 2 shown]
	ds_load_2addr_b32 v[10:11], v1 offset0:152 offset1:254
	ds_load_2addr_b32 v[21:22], v17 offset0:100 offset1:202
	;; [unrolled: 1-line block ×6, first 2 shown]
	ds_load_b32 v49, v16 offset:6528
	ds_load_2addr_b32 v[47:48], v16 offset1:102
	ds_load_2addr_b32 v[12:13], v14 offset0:76 offset1:178
	v_and_b32_e32 v4, 0xffff, v4
	v_lshlrev_b32_e32 v5, 2, v5
	global_wb scope:SCOPE_SE
	s_wait_loadcnt_dscnt 0x0
	s_barrier_signal -1
	s_barrier_wait -1
	v_mul_u32_u24_e32 v4, 0x484, v4
	global_inv scope:SCOPE_SE
	v_add3_u32 v4, 0, v4, v5
	v_lshrrev_b32_e32 v14, 16, v10
	v_lshrrev_b32_e32 v15, 16, v11
	;; [unrolled: 1-line block ×20, first 2 shown]
	s_delay_alu instid0(VALU_DEP_4) | instskip(NEXT) | instid1(VALU_DEP_4)
	v_mul_f16_e32 v61, v19, v23
	v_mul_f16_e32 v62, v24, v27
	v_mul_f16_e32 v24, v24, v12
	v_mul_f16_e32 v19, v19, v48
	s_delay_alu instid0(VALU_DEP_4) | instskip(NEXT) | instid1(VALU_DEP_4)
	v_fmac_f16_e32 v61, v6, v48
	v_fmac_f16_e32 v62, v7, v12
	v_mul_f16_e32 v48, v28, v63
	v_fma_f16 v64, v7, v27, -v24
	v_mul_f16_e32 v7, v28, v13
	v_mul_f16_e32 v27, v14, v60
	;; [unrolled: 1-line block ×3, first 2 shown]
	v_fmac_f16_e32 v48, v8, v13
	v_lshrrev_b32_e32 v13, 16, v29
	v_fma_f16 v60, v8, v63, -v7
	v_lshrrev_b32_e32 v7, 16, v30
	v_fma_f16 v6, v6, v23, -v19
	v_fmac_f16_e32 v27, v10, v9
	v_fma_f16 v28, v14, v9, -v12
	v_mul_f16_e32 v23, v15, v13
	v_mul_f16_e32 v8, v11, v13
	v_lshrrev_b32_e32 v9, 16, v31
	v_lshrrev_b32_e32 v10, 16, v32
	v_mul_f16_e32 v19, v20, v7
	v_mul_f16_e32 v7, v21, v7
	v_fmac_f16_e32 v23, v11, v29
	v_fma_f16 v24, v15, v29, -v8
	v_mul_f16_e32 v12, v50, v9
	v_mul_f16_e32 v9, v22, v9
	v_mul_f16_e32 v8, v51, v10
	v_fma_f16 v20, v20, v30, -v7
	v_mul_f16_e32 v7, v25, v10
	v_lshrrev_b32_e32 v29, 16, v47
	v_add_f16_e32 v10, v61, v47
	v_fma_f16 v13, v50, v31, -v9
	v_fmac_f16_e32 v19, v21, v30
	v_fma_f16 v9, v51, v32, -v7
	v_lshrrev_b32_e32 v7, 16, v33
	v_add_f16_e32 v11, v6, v29
	v_add_f16_e32 v14, v10, v62
	v_fmac_f16_e32 v8, v25, v32
	v_fmac_f16_e32 v12, v22, v31
	v_mul_f16_e32 v10, v52, v7
	v_mul_f16_e32 v7, v26, v7
	v_add_f16_e32 v21, v11, v64
	v_add_f16_e32 v14, v14, v48
	v_lshrrev_b32_e32 v30, 16, v36
	v_fmac_f16_e32 v10, v26, v33
	v_fma_f16 v11, v52, v33, -v7
	v_add_f16_e32 v7, v21, v60
	v_add_f16_e32 v25, v14, v27
	v_lshrrev_b32_e32 v15, 16, v34
	v_lshrrev_b32_e32 v22, 16, v35
	;; [unrolled: 1-line block ×3, first 2 shown]
	v_add_f16_e32 v7, v7, v28
	v_add_f16_e32 v25, v25, v23
	v_mul_f16_e32 v14, v53, v15
	v_mul_f16_e32 v15, v41, v15
	;; [unrolled: 1-line block ×3, first 2 shown]
	v_add_f16_e32 v7, v7, v24
	v_add_f16_e32 v26, v25, v19
	v_mul_f16_e32 v25, v55, v30
	v_mul_f16_e32 v30, v43, v30
	v_fmac_f16_e32 v14, v41, v34
	v_add_f16_e32 v7, v7, v20
	v_add_f16_e32 v31, v26, v12
	v_fma_f16 v15, v53, v34, -v15
	v_fma_f16 v26, v55, v36, -v30
	v_fmac_f16_e32 v21, v42, v35
	v_add_f16_e32 v7, v7, v13
	v_add_f16_e32 v30, v31, v8
	v_mul_f16_e32 v22, v42, v22
	v_lshrrev_b32_e32 v31, 16, v37
	v_fmac_f16_e32 v25, v43, v36
	v_add_f16_e32 v7, v7, v9
	v_add_f16_e32 v30, v30, v10
	v_fma_f16 v22, v54, v35, -v22
	v_mul_f16_e32 v34, v56, v31
	v_lshrrev_b32_e32 v35, 16, v40
	v_add_f16_e32 v7, v7, v11
	v_add_f16_e32 v30, v30, v14
	v_mul_f16_e32 v36, v57, v32
	v_mul_f16_e32 v32, v45, v32
	v_lshrrev_b32_e32 v33, 16, v39
	v_add_f16_e32 v7, v7, v15
	v_add_f16_e32 v30, v30, v21
	v_mul_f16_e32 v31, v44, v31
	v_fmac_f16_e32 v34, v44, v37
	v_fmac_f16_e32 v36, v45, v38
	v_add_f16_e32 v7, v7, v22
	v_add_f16_e32 v30, v30, v25
	v_fma_f16 v32, v57, v38, -v32
	v_mul_f16_e32 v38, v49, v35
	v_fma_f16 v31, v56, v37, -v31
	v_mul_f16_e32 v37, v58, v33
	v_add_f16_e32 v7, v7, v26
	v_add_f16_e32 v30, v30, v34
	v_mul_f16_e32 v33, v46, v33
	v_mul_f16_e32 v35, v59, v35
	v_fma_f16 v38, v59, v40, -v38
	v_fmac_f16_e32 v37, v46, v39
	v_add_f16_e32 v7, v7, v31
	v_add_f16_e32 v30, v30, v36
	v_fma_f16 v33, v58, v39, -v33
	v_fmac_f16_e32 v35, v49, v40
	v_sub_f16_e32 v39, v6, v38
	v_add_f16_e32 v7, v7, v32
	v_add_f16_e32 v30, v30, v37
	v_add_f16_e32 v40, v6, v38
	v_add_f16_e32 v41, v61, v35
	v_mul_f16_e32 v42, 0xb5c8, v39
	v_sub_f16_e32 v74, v64, v33
	v_add_f16_e32 v7, v7, v33
	v_sub_f16_e32 v43, v61, v35
	v_mul_f16_e32 v44, 0x3b76, v40
	v_fmamk_f16 v45, v41, 0x3b76, v42
	v_add_f16_e32 v6, v30, v35
	v_mul_f16_e32 v35, 0xb964, v39
	v_mul_f16_e32 v46, 0x39e9, v40
	;; [unrolled: 1-line block ×14, first 2 shown]
	v_add_f16_e32 v76, v62, v37
	v_mul_f16_e32 v77, 0xb964, v74
	v_add_f16_e32 v33, v64, v33
	v_add_f16_e32 v7, v7, v38
	v_fmamk_f16 v30, v43, 0x35c8, v44
	v_add_f16_e32 v38, v45, v47
	v_fma_f16 v42, v41, 0x3b76, -v42
	v_fmac_f16_e32 v44, 0xb5c8, v43
	v_fmamk_f16 v45, v41, 0x39e9, v35
	v_fmamk_f16 v50, v43, 0x3964, v46
	v_fma_f16 v35, v41, 0x39e9, -v35
	v_fmac_f16_e32 v46, 0xb964, v43
	v_fmamk_f16 v51, v41, 0x3722, v49
	v_fmamk_f16 v53, v43, 0x3b29, v52
	;; [unrolled: 4-line block ×7, first 2 shown]
	v_fma_f16 v39, v41, 0xbbdd, -v39
	v_fmac_f16_e32 v40, 0xb1e1, v43
	v_sub_f16_e32 v37, v62, v37
	v_fmamk_f16 v41, v76, 0x39e9, v77
	v_mul_f16_e32 v43, 0x39e9, v33
	v_add_f16_e32 v30, v30, v29
	v_add_f16_e32 v42, v42, v47
	;; [unrolled: 1-line block ×32, first 2 shown]
	v_fmamk_f16 v40, v37, 0x3964, v43
	v_mul_f16_e32 v41, 0xbbf7, v74
	v_fma_f16 v47, v76, 0x39e9, -v77
	v_fmac_f16_e32 v43, 0xb964, v37
	v_mul_f16_e32 v64, 0x2de8, v33
	v_add_f16_e32 v30, v40, v30
	v_fmamk_f16 v40, v76, 0x2de8, v41
	v_add_f16_e32 v42, v47, v42
	v_add_f16_e32 v43, v43, v44
	v_fmamk_f16 v44, v37, 0x3bf7, v64
	v_mul_f16_e32 v47, 0xba62, v74
	v_fma_f16 v41, v76, 0x2de8, -v41
	v_fmac_f16_e32 v64, 0xbbf7, v37
	v_add_f16_e32 v40, v40, v45
	v_add_f16_e32 v44, v44, v50
	v_fmamk_f16 v45, v76, 0xb8d2, v47
	v_mul_f16_e32 v50, 0xb8d2, v33
	v_add_f16_e32 v35, v41, v35
	v_add_f16_e32 v41, v64, v46
	v_mul_f16_e32 v46, 0xb1e1, v74
	v_add_f16_e32 v45, v45, v51
	v_fmamk_f16 v51, v37, 0x3a62, v50
	v_fma_f16 v47, v76, 0xb8d2, -v47
	v_fmac_f16_e32 v50, 0xba62, v37
	v_fmamk_f16 v64, v76, 0xbbdd, v46
	v_mul_f16_e32 v75, 0xbbdd, v33
	v_add_f16_e32 v51, v51, v53
	v_add_f16_e32 v47, v47, v49
	;; [unrolled: 1-line block ×4, first 2 shown]
	v_fmamk_f16 v52, v37, 0x31e1, v75
	v_mul_f16_e32 v53, 0x3836, v74
	v_fma_f16 v46, v76, 0xbbdd, -v46
	v_fmac_f16_e32 v75, 0xb1e1, v37
	v_mul_f16_e32 v56, 0xbacd, v33
	v_add_f16_e32 v52, v52, v57
	v_fmamk_f16 v57, v76, 0xbacd, v53
	v_add_f16_e32 v46, v46, v54
	v_add_f16_e32 v54, v75, v55
	v_fmamk_f16 v55, v37, 0xb836, v56
	v_mul_f16_e32 v64, 0x3bb2, v74
	v_fma_f16 v53, v76, 0xbacd, -v53
	v_add_f16_e32 v57, v57, v59
	v_fmac_f16_e32 v56, 0x3836, v37
	v_add_f16_e32 v55, v55, v65
	v_fmamk_f16 v59, v76, 0xb461, v64
	v_mul_f16_e32 v65, 0xb461, v33
	v_add_f16_e32 v53, v53, v58
	v_mul_f16_e32 v58, 0x3b29, v74
	v_add_f16_e32 v56, v56, v61
	v_add_f16_e32 v59, v59, v66
	v_fmamk_f16 v61, v37, 0xbbb2, v65
	v_fma_f16 v64, v76, 0xb461, -v64
	v_fmac_f16_e32 v65, 0x3bb2, v37
	v_fmamk_f16 v66, v76, 0x3722, v58
	v_mul_f16_e32 v75, 0x3722, v33
	v_mul_f16_e32 v33, 0x3b76, v33
	v_add_f16_e32 v63, v64, v63
	v_add_f16_e32 v64, v65, v67
	v_add_f16_e32 v65, v66, v71
	v_fmamk_f16 v66, v37, 0xbb29, v75
	v_fma_f16 v58, v76, 0x3722, -v58
	v_fmac_f16_e32 v75, 0x3b29, v37
	v_mul_f16_e32 v67, 0x35c8, v74
	v_fmamk_f16 v71, v37, 0xb5c8, v33
	v_add_f16_e32 v61, v61, v68
	v_add_f16_e32 v58, v58, v69
	;; [unrolled: 1-line block ×3, first 2 shown]
	v_sub_f16_e32 v70, v60, v32
	v_add_f16_e32 v32, v60, v32
	v_fmamk_f16 v68, v76, 0x3b76, v67
	v_add_f16_e32 v62, v71, v62
	v_add_f16_e32 v71, v48, v36
	v_mul_f16_e32 v60, 0xbb29, v70
	v_fma_f16 v67, v76, 0x3b76, -v67
	v_fmac_f16_e32 v33, 0x35c8, v37
	v_sub_f16_e32 v36, v48, v36
	v_mul_f16_e32 v37, 0x3722, v32
	v_fmamk_f16 v48, v71, 0x3722, v60
	v_add_f16_e32 v39, v67, v39
	v_add_f16_e32 v29, v33, v29
	v_mul_f16_e32 v33, 0xba62, v70
	v_fmamk_f16 v67, v36, 0x3b29, v37
	v_add_f16_e32 v38, v48, v38
	v_fma_f16 v48, v71, 0x3722, -v60
	v_fmac_f16_e32 v37, 0xbb29, v36
	v_fmamk_f16 v60, v71, 0xb8d2, v33
	v_add_f16_e32 v30, v67, v30
	v_mul_f16_e32 v67, 0xb8d2, v32
	v_add_f16_e32 v42, v48, v42
	v_fma_f16 v33, v71, 0xb8d2, -v33
	v_add_f16_e32 v40, v60, v40
	v_mul_f16_e32 v60, 0xbbdd, v32
	v_fmamk_f16 v48, v36, 0x3a62, v67
	v_fmac_f16_e32 v67, 0xba62, v36
	v_add_f16_e32 v37, v37, v43
	v_mul_f16_e32 v43, 0x31e1, v70
	v_add_f16_e32 v33, v33, v35
	v_add_f16_e32 v66, v66, v72
	;; [unrolled: 1-line block ×3, first 2 shown]
	v_fmamk_f16 v41, v36, 0xb1e1, v60
	v_fmamk_f16 v72, v71, 0xbbdd, v43
	v_add_f16_e32 v44, v48, v44
	v_mul_f16_e32 v48, 0x3bb2, v70
	v_fma_f16 v43, v71, 0xbbdd, -v43
	v_fmac_f16_e32 v60, 0x31e1, v36
	v_add_f16_e32 v41, v41, v51
	v_mul_f16_e32 v51, 0xb461, v32
	v_fmamk_f16 v67, v71, 0xb461, v48
	v_add_f16_e32 v43, v43, v47
	v_add_f16_e32 v47, v60, v49
	v_mul_f16_e32 v49, 0x3964, v70
	v_fmamk_f16 v60, v36, 0xbbb2, v51
	v_fma_f16 v48, v71, 0xb461, -v48
	v_fmac_f16_e32 v51, 0x3bb2, v36
	v_add_f16_e32 v50, v67, v50
	v_fmamk_f16 v67, v71, 0x39e9, v49
	v_add_f16_e32 v52, v60, v52
	v_mul_f16_e32 v60, 0x39e9, v32
	v_add_f16_e32 v46, v48, v46
	v_add_f16_e32 v48, v51, v54
	v_mul_f16_e32 v54, 0xb5c8, v70
	v_add_f16_e32 v45, v72, v45
	v_add_f16_e32 v51, v67, v57
	v_fmamk_f16 v57, v36, 0xb964, v60
	v_fma_f16 v49, v71, 0x39e9, -v49
	v_fmac_f16_e32 v60, 0x3964, v36
	v_mul_f16_e32 v67, 0x3b76, v32
	v_fmamk_f16 v72, v71, 0x3b76, v54
	v_add_f16_e32 v55, v57, v55
	v_add_f16_e32 v49, v49, v53
	;; [unrolled: 1-line block ×3, first 2 shown]
	v_fmamk_f16 v56, v36, 0x35c8, v67
	v_add_f16_e32 v57, v72, v59
	v_mul_f16_e32 v59, 0xbbf7, v70
	v_fma_f16 v54, v71, 0x3b76, -v54
	v_fmac_f16_e32 v67, 0xb5c8, v36
	v_add_f16_e32 v56, v56, v61
	v_mul_f16_e32 v60, 0x2de8, v32
	v_fmamk_f16 v61, v71, 0x2de8, v59
	v_add_f16_e32 v54, v54, v63
	v_add_f16_e32 v63, v67, v64
	v_mul_f16_e32 v64, 0xb836, v70
	v_add_f16_e32 v68, v68, v73
	v_fmamk_f16 v67, v36, 0x3bf7, v60
	v_add_f16_e32 v61, v61, v65
	v_fma_f16 v59, v71, 0x2de8, -v59
	v_fmac_f16_e32 v60, 0xbbf7, v36
	v_fmamk_f16 v65, v71, 0xbacd, v64
	v_mul_f16_e32 v32, 0xbacd, v32
	v_add_f16_e32 v66, v67, v66
	v_add_f16_e32 v58, v59, v58
	;; [unrolled: 1-line block ×4, first 2 shown]
	v_sub_f16_e32 v65, v28, v31
	v_add_f16_e32 v28, v28, v31
	v_fmamk_f16 v67, v36, 0x3836, v32
	v_fma_f16 v64, v71, 0xbacd, -v64
	v_add_f16_e32 v31, v27, v34
	v_mul_f16_e32 v68, 0xbbf7, v65
	v_fmac_f16_e32 v32, 0xb836, v36
	v_sub_f16_e32 v27, v27, v34
	v_mul_f16_e32 v34, 0x2de8, v28
	v_add_f16_e32 v36, v67, v62
	v_fmamk_f16 v62, v31, 0x2de8, v68
	v_add_f16_e32 v39, v64, v39
	v_add_f16_e32 v29, v32, v29
	v_fmamk_f16 v32, v27, 0x3bf7, v34
	v_mul_f16_e32 v64, 0xb1e1, v65
	v_fmac_f16_e32 v34, 0xbbf7, v27
	v_add_f16_e32 v38, v62, v38
	v_fma_f16 v62, v31, 0x2de8, -v68
	v_add_f16_e32 v30, v32, v30
	v_fmamk_f16 v32, v31, 0xbbdd, v64
	v_mul_f16_e32 v67, 0xbbdd, v28
	v_add_f16_e32 v34, v34, v37
	v_mul_f16_e32 v37, 0x3bb2, v65
	v_add_f16_e32 v42, v62, v42
	v_add_f16_e32 v32, v32, v40
	v_fmamk_f16 v40, v27, 0x31e1, v67
	v_fma_f16 v62, v31, 0xbbdd, -v64
	v_fmamk_f16 v64, v31, 0xb461, v37
	v_mul_f16_e32 v68, 0xb461, v28
	v_fmac_f16_e32 v67, 0xb1e1, v27
	v_add_f16_e32 v40, v40, v44
	v_add_f16_e32 v33, v62, v33
	;; [unrolled: 1-line block ×3, first 2 shown]
	v_fmamk_f16 v45, v27, 0xbbb2, v68
	v_mul_f16_e32 v62, 0x35c8, v65
	v_fma_f16 v37, v31, 0xb461, -v37
	v_fmac_f16_e32 v68, 0x3bb2, v27
	v_mul_f16_e32 v64, 0x3b76, v28
	v_add_f16_e32 v41, v45, v41
	v_fmamk_f16 v45, v31, 0x3b76, v62
	v_add_f16_e32 v35, v67, v35
	v_add_f16_e32 v37, v37, v43
	;; [unrolled: 1-line block ×3, first 2 shown]
	v_fmamk_f16 v47, v27, 0xb5c8, v64
	v_mul_f16_e32 v67, 0xbb29, v65
	v_add_f16_e32 v45, v45, v50
	v_fma_f16 v50, v31, 0x3b76, -v62
	v_fmac_f16_e32 v64, 0x35c8, v27
	v_add_f16_e32 v47, v47, v52
	v_fmamk_f16 v52, v31, 0x3722, v67
	v_mul_f16_e32 v62, 0x3722, v28
	v_add_f16_e32 v46, v50, v46
	v_mul_f16_e32 v50, 0xb836, v65
	v_add_f16_e32 v48, v64, v48
	v_add_f16_e32 v51, v52, v51
	v_fmamk_f16 v52, v27, 0x3b29, v62
	v_fma_f16 v64, v31, 0x3722, -v67
	v_fmac_f16_e32 v62, 0xbb29, v27
	v_fmamk_f16 v67, v31, 0xbacd, v50
	v_mul_f16_e32 v68, 0xbacd, v28
	v_add_f16_e32 v52, v52, v55
	v_add_f16_e32 v49, v64, v49
	;; [unrolled: 1-line block ×4, first 2 shown]
	v_fmamk_f16 v57, v27, 0x3836, v68
	v_mul_f16_e32 v62, 0x3a62, v65
	v_fma_f16 v50, v31, 0xbacd, -v50
	v_mul_f16_e32 v64, 0xb8d2, v28
	v_mul_f16_e32 v65, 0x3964, v65
	v_add_f16_e32 v56, v57, v56
	v_fmamk_f16 v57, v31, 0xb8d2, v62
	v_add_f16_e32 v50, v50, v54
	v_fmamk_f16 v54, v27, 0xba62, v64
	v_fmac_f16_e32 v64, 0x3a62, v27
	v_mul_f16_e32 v28, 0x39e9, v28
	v_add_f16_e32 v57, v57, v61
	v_fma_f16 v61, v31, 0xb8d2, -v62
	v_fmamk_f16 v62, v31, 0x39e9, v65
	v_fmac_f16_e32 v68, 0xb836, v27
	v_add_f16_e32 v54, v54, v66
	v_add_f16_e32 v59, v64, v59
	;; [unrolled: 1-line block ×3, first 2 shown]
	v_sub_f16_e32 v61, v24, v26
	v_add_f16_e32 v24, v24, v26
	v_add_f16_e32 v60, v62, v60
	v_fmamk_f16 v62, v27, 0xb964, v28
	v_add_f16_e32 v64, v23, v25
	v_mul_f16_e32 v66, 0xbbb2, v61
	v_fmac_f16_e32 v28, 0x3964, v27
	v_sub_f16_e32 v23, v23, v25
	v_mul_f16_e32 v27, 0xb461, v24
	v_fma_f16 v26, v31, 0x39e9, -v65
	v_fmamk_f16 v25, v64, 0xb461, v66
	v_add_f16_e32 v31, v62, v36
	v_add_f16_e32 v28, v28, v29
	v_fmamk_f16 v29, v23, 0x3bb2, v27
	v_mul_f16_e32 v36, 0x3836, v61
	v_add_f16_e32 v26, v26, v39
	v_add_f16_e32 v25, v25, v38
	v_fma_f16 v38, v64, 0xb461, -v66
	v_fmac_f16_e32 v27, 0xbbb2, v23
	v_mul_f16_e32 v39, 0xbacd, v24
	v_add_f16_e32 v29, v29, v30
	v_fmamk_f16 v30, v64, 0xbacd, v36
	v_add_f16_e32 v38, v38, v42
	v_add_f16_e32 v27, v27, v34
	v_fmamk_f16 v34, v23, 0xb836, v39
	v_mul_f16_e32 v42, 0x3964, v61
	v_add_f16_e32 v30, v30, v32
	v_fma_f16 v32, v64, 0xbacd, -v36
	v_fmac_f16_e32 v39, 0x3836, v23
	v_add_f16_e32 v34, v34, v40
	v_fmamk_f16 v36, v64, 0x39e9, v42
	v_mul_f16_e32 v40, 0x39e9, v24
	v_add_f16_e32 v32, v32, v33
	v_add_f16_e32 v33, v39, v35
	v_mul_f16_e32 v35, 0xbb29, v61
	v_add_f16_e32 v36, v36, v44
	v_fmamk_f16 v39, v23, 0xb964, v40
	v_fma_f16 v42, v64, 0x39e9, -v42
	v_fmac_f16_e32 v40, 0x3964, v23
	v_fmamk_f16 v44, v64, 0x3722, v35
	v_mul_f16_e32 v62, 0x3722, v24
	v_add_f16_e32 v39, v39, v41
	v_add_f16_e32 v37, v42, v37
	;; [unrolled: 1-line block ×4, first 2 shown]
	v_fmamk_f16 v42, v23, 0x3b29, v62
	v_mul_f16_e32 v43, 0xb1e1, v61
	v_fma_f16 v35, v64, 0x3722, -v35
	v_fmac_f16_e32 v62, 0xbb29, v23
	v_mul_f16_e32 v44, 0xbbdd, v24
	v_add_f16_e32 v42, v42, v47
	v_fmamk_f16 v45, v64, 0xbbdd, v43
	v_add_f16_e32 v35, v35, v46
	v_add_f16_e32 v46, v62, v48
	v_fmamk_f16 v47, v23, 0x31e1, v44
	v_mul_f16_e32 v48, 0x3bf7, v61
	v_fma_f16 v43, v64, 0xbbdd, -v43
	v_add_f16_e32 v45, v45, v51
	v_fmac_f16_e32 v44, 0xb1e1, v23
	v_add_f16_e32 v47, v47, v52
	v_fmamk_f16 v51, v64, 0x2de8, v48
	v_mul_f16_e32 v52, 0x2de8, v24
	v_add_f16_e32 v43, v43, v49
	v_mul_f16_e32 v49, 0xb5c8, v61
	v_add_f16_e32 v63, v68, v63
	v_add_f16_e32 v44, v44, v53
	v_add_f16_e32 v51, v51, v55
	v_fmamk_f16 v53, v23, 0xbbf7, v52
	v_fma_f16 v48, v64, 0x2de8, -v48
	v_fmac_f16_e32 v52, 0x3bf7, v23
	v_fmamk_f16 v55, v64, 0x3b76, v49
	v_mul_f16_e32 v62, 0x3b76, v24
	v_mul_f16_e32 v24, 0xb8d2, v24
	v_add_f16_e32 v48, v48, v50
	v_add_f16_e32 v50, v52, v63
	;; [unrolled: 1-line block ×3, first 2 shown]
	v_fmamk_f16 v55, v23, 0x35c8, v62
	v_fma_f16 v49, v64, 0x3b76, -v49
	v_fmac_f16_e32 v62, 0xb5c8, v23
	v_add_f16_e32 v53, v53, v56
	v_mul_f16_e32 v56, 0xba62, v61
	v_fmamk_f16 v57, v23, 0x3a62, v24
	v_add_f16_e32 v49, v49, v58
	v_add_f16_e32 v58, v62, v59
	v_sub_f16_e32 v59, v20, v22
	v_add_f16_e32 v20, v20, v22
	v_add_f16_e32 v54, v55, v54
	v_fmamk_f16 v55, v64, 0xb8d2, v56
	v_add_f16_e32 v31, v57, v31
	v_add_f16_e32 v57, v19, v21
	v_mul_f16_e32 v22, 0xba62, v59
	v_fma_f16 v56, v64, 0xb8d2, -v56
	v_fmac_f16_e32 v24, 0xba62, v23
	v_sub_f16_e32 v19, v19, v21
	v_mul_f16_e32 v21, 0xb8d2, v20
	v_fmamk_f16 v23, v57, 0xb8d2, v22
	v_add_f16_e32 v26, v56, v26
	v_add_f16_e32 v24, v24, v28
	v_mul_f16_e32 v28, 0x3bb2, v59
	v_fmamk_f16 v56, v19, 0x3a62, v21
	v_add_f16_e32 v23, v23, v25
	v_fma_f16 v22, v57, 0xb8d2, -v22
	v_fmac_f16_e32 v21, 0xba62, v19
	v_fmamk_f16 v25, v57, 0xb461, v28
	v_add_f16_e32 v29, v56, v29
	v_mul_f16_e32 v56, 0xb461, v20
	v_add_f16_e32 v22, v22, v38
	v_add_f16_e32 v21, v21, v27
	;; [unrolled: 1-line block ×3, first 2 shown]
	v_mul_f16_e32 v27, 0xb5c8, v59
	v_fmamk_f16 v30, v19, 0xbbb2, v56
	v_fma_f16 v28, v57, 0xb461, -v28
	v_fmac_f16_e32 v56, 0x3bb2, v19
	v_mul_f16_e32 v38, 0x3b76, v20
	v_add_f16_e32 v55, v55, v60
	v_fmamk_f16 v60, v57, 0x3b76, v27
	v_add_f16_e32 v28, v28, v32
	v_add_f16_e32 v32, v56, v33
	v_fmamk_f16 v33, v19, 0x35c8, v38
	v_add_f16_e32 v30, v30, v34
	v_add_f16_e32 v34, v60, v36
	v_mul_f16_e32 v36, 0xb836, v59
	v_fma_f16 v27, v57, 0x3b76, -v27
	v_fmac_f16_e32 v38, 0xb5c8, v19
	v_add_f16_e32 v33, v33, v39
	v_mul_f16_e32 v39, 0xbacd, v20
	v_fmamk_f16 v56, v57, 0xbacd, v36
	v_add_f16_e32 v27, v27, v37
	v_add_f16_e32 v37, v38, v40
	v_mul_f16_e32 v38, 0x3bf7, v59
	v_fmamk_f16 v40, v19, 0x3836, v39
	v_add_f16_e32 v41, v56, v41
	v_fma_f16 v36, v57, 0xbacd, -v36
	v_fmac_f16_e32 v39, 0xb836, v19
	v_fmamk_f16 v56, v57, 0x2de8, v38
	v_add_f16_e32 v40, v40, v42
	v_mul_f16_e32 v42, 0x2de8, v20
	v_add_f16_e32 v35, v36, v35
	v_add_f16_e32 v36, v39, v46
	;; [unrolled: 1-line block ×3, first 2 shown]
	v_mul_f16_e32 v45, 0xb964, v59
	v_fmamk_f16 v46, v19, 0xbbf7, v42
	v_fma_f16 v38, v57, 0x2de8, -v38
	v_mul_f16_e32 v56, 0x39e9, v20
	v_fmac_f16_e32 v42, 0x3bf7, v19
	v_fmamk_f16 v60, v57, 0x39e9, v45
	v_add_f16_e32 v46, v46, v47
	v_add_f16_e32 v38, v38, v43
	v_fmamk_f16 v43, v19, 0x3964, v56
	v_mul_f16_e32 v47, 0xb1e1, v59
	v_fma_f16 v45, v57, 0x39e9, -v45
	v_fmac_f16_e32 v56, 0xb964, v19
	v_add_f16_e32 v42, v42, v44
	v_add_f16_e32 v44, v60, v51
	v_add_f16_e32 v43, v43, v53
	v_mul_f16_e32 v51, 0xbbdd, v20
	v_fmamk_f16 v53, v57, 0xbbdd, v47
	v_add_f16_e32 v45, v45, v48
	v_add_f16_e32 v48, v56, v50
	v_mul_f16_e32 v50, 0x3b29, v59
	v_fmamk_f16 v56, v19, 0x31e1, v51
	v_add_f16_e32 v52, v53, v52
	v_fma_f16 v47, v57, 0xbbdd, -v47
	v_fmac_f16_e32 v51, 0xb1e1, v19
	v_fmamk_f16 v53, v57, 0x3722, v50
	v_mul_f16_e32 v20, 0x3722, v20
	v_add_f16_e32 v54, v56, v54
	v_add_f16_e32 v47, v47, v49
	;; [unrolled: 1-line block ×4, first 2 shown]
	v_sub_f16_e32 v53, v13, v15
	v_add_f16_e32 v13, v13, v15
	v_fmamk_f16 v55, v19, 0xbb29, v20
	v_fma_f16 v50, v57, 0x3722, -v50
	v_add_f16_e32 v15, v12, v14
	v_mul_f16_e32 v56, 0xb836, v53
	v_fmac_f16_e32 v20, 0x3b29, v19
	v_sub_f16_e32 v12, v12, v14
	v_mul_f16_e32 v14, 0xbacd, v13
	v_add_f16_e32 v19, v55, v31
	v_fmamk_f16 v31, v15, 0xbacd, v56
	v_add_f16_e32 v26, v50, v26
	v_add_f16_e32 v20, v20, v24
	v_fmamk_f16 v24, v12, 0x3836, v14
	v_mul_f16_e32 v50, 0x3b29, v53
	v_fmac_f16_e32 v14, 0xb836, v12
	v_add_f16_e32 v23, v31, v23
	v_fma_f16 v31, v15, 0xbacd, -v56
	v_add_f16_e32 v24, v24, v29
	v_fmamk_f16 v29, v15, 0x3722, v50
	v_mul_f16_e32 v55, 0x3722, v13
	v_add_f16_e32 v14, v14, v21
	v_mul_f16_e32 v21, 0xbbf7, v53
	v_add_f16_e32 v22, v31, v22
	v_add_f16_e32 v25, v29, v25
	v_fmamk_f16 v29, v12, 0xbb29, v55
	v_fma_f16 v31, v15, 0x3722, -v50
	v_fmac_f16_e32 v55, 0x3b29, v12
	v_fmamk_f16 v50, v15, 0x2de8, v21
	v_mul_f16_e32 v56, 0x2de8, v13
	v_add_f16_e32 v29, v29, v30
	v_add_f16_e32 v28, v31, v28
	;; [unrolled: 1-line block ×4, first 2 shown]
	v_fmamk_f16 v32, v12, 0x3bf7, v56
	v_mul_f16_e32 v34, 0x3a62, v53
	v_fma_f16 v21, v15, 0x2de8, -v21
	v_mul_f16_e32 v50, 0xb8d2, v13
	v_mul_f16_e32 v55, 0xb5c8, v53
	v_add_f16_e32 v32, v32, v33
	v_fmamk_f16 v33, v15, 0xb8d2, v34
	v_add_f16_e32 v27, v21, v27
	v_fmamk_f16 v21, v12, 0xba62, v50
	v_fma_f16 v34, v15, 0xb8d2, -v34
	v_fmac_f16_e32 v50, 0x3a62, v12
	v_fmac_f16_e32 v56, 0xbbf7, v12
	v_add_f16_e32 v33, v33, v41
	v_add_f16_e32 v40, v21, v40
	v_fmamk_f16 v21, v15, 0x3b76, v55
	v_mul_f16_e32 v41, 0x3b76, v13
	v_add_f16_e32 v34, v34, v35
	v_add_f16_e32 v35, v50, v36
	v_mul_f16_e32 v36, 0xb1e1, v53
	v_add_f16_e32 v37, v56, v37
	v_add_f16_e32 v39, v21, v39
	v_fmamk_f16 v21, v12, 0x35c8, v41
	v_fma_f16 v50, v15, 0x3b76, -v55
	v_fmac_f16_e32 v41, 0xb5c8, v12
	v_fmamk_f16 v55, v15, 0xbbdd, v36
	v_mul_f16_e32 v56, 0xbbdd, v13
	v_add_f16_e32 v46, v21, v46
	v_add_f16_e32 v38, v50, v38
	;; [unrolled: 1-line block ×4, first 2 shown]
	v_fmamk_f16 v21, v12, 0x31e1, v56
	v_mul_f16_e32 v44, 0x3964, v53
	v_fma_f16 v36, v15, 0xbbdd, -v36
	v_mul_f16_e32 v50, 0x39e9, v13
	v_mul_f16_e32 v53, 0xbbb2, v53
	v_add_f16_e32 v43, v21, v43
	v_fmamk_f16 v21, v15, 0x39e9, v44
	v_add_f16_e32 v36, v36, v45
	v_fmamk_f16 v45, v12, 0xb964, v50
	v_fmac_f16_e32 v50, 0x3964, v12
	v_mul_f16_e32 v13, 0xb461, v13
	v_add_f16_e32 v52, v21, v52
	v_fma_f16 v21, v15, 0x39e9, -v44
	v_add_f16_e32 v44, v45, v54
	v_fmamk_f16 v45, v15, 0xb461, v53
	v_sub_f16_e32 v54, v9, v11
	v_add_f16_e32 v9, v9, v11
	v_fmac_f16_e32 v56, 0xb1e1, v12
	v_add_f16_e32 v47, v21, v47
	v_add_f16_e32 v49, v50, v49
	v_add_f16_e32 v45, v45, v51
	v_fmamk_f16 v21, v12, 0x3bb2, v13
	v_add_f16_e32 v50, v8, v10
	v_mul_f16_e32 v51, 0xb1e1, v54
	v_fmac_f16_e32 v13, 0xbbb2, v12
	v_sub_f16_e32 v8, v8, v10
	v_mul_f16_e32 v12, 0xbbdd, v9
	v_fma_f16 v11, v15, 0xb461, -v53
	v_fmamk_f16 v10, v50, 0xbbdd, v51
	v_add_f16_e32 v15, v21, v19
	v_add_f16_e32 v13, v13, v20
	v_fmamk_f16 v19, v8, 0x31e1, v12
	v_mul_f16_e32 v21, 0x35c8, v54
	v_fma_f16 v20, v50, 0xbbdd, -v51
	v_fmac_f16_e32 v12, 0xb1e1, v8
	v_add_f16_e32 v10, v10, v23
	v_mul_f16_e32 v23, 0x3b76, v9
	v_add_f16_e32 v51, v19, v24
	v_fmamk_f16 v19, v50, 0x3b76, v21
	v_add_f16_e32 v20, v20, v22
	v_add_f16_e32 v22, v12, v14
	v_mul_f16_e32 v14, 0xb836, v54
	v_add_f16_e32 v11, v11, v26
	v_fmamk_f16 v12, v8, 0xb5c8, v23
	v_add_f16_e32 v53, v19, v25
	v_fma_f16 v19, v50, 0x3b76, -v21
	v_fmac_f16_e32 v23, 0x35c8, v8
	v_fmamk_f16 v24, v50, 0xbacd, v14
	v_mul_f16_e32 v26, 0xbacd, v9
	v_add_f16_e32 v12, v12, v29
	v_add_f16_e32 v21, v19, v28
	;; [unrolled: 1-line block ×3, first 2 shown]
	v_mul_f16_e32 v19, 0x3964, v54
	v_add_f16_e32 v29, v24, v31
	v_fmamk_f16 v24, v8, 0x3836, v26
	v_mul_f16_e32 v30, 0x39e9, v9
	v_fma_f16 v14, v50, 0xbacd, -v14
	v_fmac_f16_e32 v26, 0xb836, v8
	v_fmamk_f16 v28, v50, 0x39e9, v19
	v_add_f16_e32 v31, v24, v32
	v_fmamk_f16 v24, v8, 0xb964, v30
	v_mul_f16_e32 v32, 0xba62, v54
	v_add_f16_e32 v25, v14, v27
	v_add_f16_e32 v27, v26, v37
	;; [unrolled: 1-line block ×3, first 2 shown]
	v_fma_f16 v19, v50, 0x39e9, -v19
	v_mul_f16_e32 v33, 0xb8d2, v9
	v_add_f16_e32 v37, v24, v40
	v_fmamk_f16 v24, v50, 0xb8d2, v32
	v_fmac_f16_e32 v30, 0x3964, v8
	v_add_f16_e32 v26, v19, v34
	v_fmamk_f16 v19, v8, 0x3a62, v33
	v_fmac_f16_e32 v33, 0xba62, v8
	v_add_f16_e32 v34, v24, v39
	v_fma_f16 v24, v50, 0xb8d2, -v32
	v_add_f16_e32 v28, v30, v35
	v_mul_f16_e32 v30, 0x3b29, v54
	v_add_f16_e32 v32, v19, v46
	v_mul_f16_e32 v39, 0x3722, v9
	v_add_f16_e32 v19, v24, v38
	v_add_f16_e32 v24, v33, v41
	v_mul_f16_e32 v33, 0xbbb2, v54
	v_add_f16_e32 v48, v56, v48
	v_fmamk_f16 v35, v50, 0x3722, v30
	v_fmamk_f16 v38, v8, 0xbb29, v39
	v_fma_f16 v30, v50, 0x3722, -v30
	v_fmac_f16_e32 v39, 0x3b29, v8
	v_fmamk_f16 v40, v50, 0xb461, v33
	v_mul_f16_e32 v41, 0xb461, v9
	v_add_f16_e32 v35, v35, v42
	v_add_f16_e32 v30, v30, v36
	;; [unrolled: 1-line block ×4, first 2 shown]
	v_fmamk_f16 v40, v8, 0x3bb2, v41
	v_mul_f16_e32 v42, 0x3bf7, v54
	v_mul_f16_e32 v9, 0x2de8, v9
	v_add_f16_e32 v38, v38, v43
	v_fma_f16 v33, v50, 0xb461, -v33
	v_add_f16_e32 v40, v40, v44
	v_fmamk_f16 v43, v50, 0x2de8, v42
	v_fmamk_f16 v44, v8, 0xbbf7, v9
	v_fma_f16 v42, v50, 0x2de8, -v42
	v_fmac_f16_e32 v9, 0x3bf7, v8
	v_fmac_f16_e32 v41, 0xbbb2, v8
	v_add_f16_e32 v43, v43, v45
	v_add_f16_e32 v8, v44, v15
	;; [unrolled: 1-line block ×4, first 2 shown]
	v_pack_b32_f16 v5, v6, v7
	v_pack_b32_f16 v6, v10, v51
	v_add_f16_e32 v33, v33, v47
	v_add_f16_e32 v41, v41, v49
	v_pack_b32_f16 v7, v53, v12
	v_pack_b32_f16 v10, v29, v31
	;; [unrolled: 1-line block ×6, first 2 shown]
	ds_store_2addr_b32 v4, v5, v6 offset1:17
	ds_store_2addr_b32 v4, v7, v10 offset0:34 offset1:51
	ds_store_2addr_b32 v4, v12, v13 offset0:68 offset1:85
	;; [unrolled: 1-line block ×3, first 2 shown]
	v_pack_b32_f16 v5, v43, v8
	v_pack_b32_f16 v6, v11, v9
	;; [unrolled: 1-line block ×8, first 2 shown]
	v_add_nc_u32_e32 v31, 0x1000, v16
	v_pack_b32_f16 v13, v20, v22
	v_add_nc_u32_e32 v32, 0x1600, v16
	ds_store_2addr_b32 v4, v5, v6 offset0:136 offset1:153
	ds_store_2addr_b32 v4, v7, v8 offset0:170 offset1:187
	;; [unrolled: 1-line block ×4, first 2 shown]
	ds_store_b32 v4, v13 offset:1088
	global_wb scope:SCOPE_SE
	s_wait_dscnt 0x0
	s_barrier_signal -1
	s_barrier_wait -1
	global_inv scope:SCOPE_SE
	ds_load_2addr_b32 v[4:5], v16 offset1:102
	ds_load_2addr_b32 v[14:15], v1 offset0:33 offset1:135
	ds_load_2addr_b32 v[12:13], v17 offset0:66 offset1:168
	;; [unrolled: 1-line block ×5, first 2 shown]
                                        ; implicit-def: $vgpr30
                                        ; implicit-def: $vgpr29
	s_and_saveexec_b32 s1, s0
	s_cbranch_execz .LBB0_21
; %bb.20:
	ds_load_b32 v19, v16 offset:816
	ds_load_b32 v26, v16 offset:1972
	;; [unrolled: 1-line block ×6, first 2 shown]
	s_wait_dscnt 0x5
	v_lshrrev_b32_e32 v24, 16, v19
	s_wait_dscnt 0x4
	v_lshrrev_b32_e32 v28, 16, v26
	;; [unrolled: 2-line block ×6, first 2 shown]
.LBB0_21:
	s_wait_alu 0xfffe
	s_or_b32 exec_lo, exec_lo, s1
	v_mul_u32_u24_e32 v33, 5, v0
	s_wait_dscnt 0x0
	v_lshrrev_b32_e32 v46, 16, v7
	v_lshrrev_b32_e32 v47, 16, v11
	;; [unrolled: 1-line block ×4, first 2 shown]
	v_lshlrev_b32_e32 v41, 2, v33
	v_lshrrev_b32_e32 v51, 16, v8
	v_lshrrev_b32_e32 v52, 16, v10
	;; [unrolled: 1-line block ×4, first 2 shown]
	s_clause 0x3
	global_load_b128 v[33:36], v41, s[4:5] offset:1088
	global_load_b32 v42, v41, s[4:5] offset:1104
	global_load_b128 v[37:40], v41, s[4:5] offset:3128
	global_load_b32 v41, v41, s[4:5] offset:3144
	v_lshrrev_b32_e32 v45, 16, v9
	v_lshrrev_b32_e32 v48, 16, v13
	;; [unrolled: 1-line block ×4, first 2 shown]
	global_wb scope:SCOPE_SE
	s_wait_loadcnt 0x0
	s_barrier_signal -1
	s_barrier_wait -1
	global_inv scope:SCOPE_SE
	v_lshrrev_b32_e32 v55, 16, v33
	v_lshrrev_b32_e32 v56, 16, v34
	;; [unrolled: 1-line block ×10, first 2 shown]
	v_mul_f16_e32 v65, v55, v54
	v_mul_f16_e32 v55, v55, v14
	;; [unrolled: 1-line block ×20, first 2 shown]
	v_fmac_f16_e32 v65, v33, v14
	v_fma_f16 v14, v33, v54, -v55
	v_fmac_f16_e32 v66, v34, v12
	v_fmac_f16_e32 v67, v35, v10
	v_fma_f16 v10, v35, v52, -v57
	v_fmac_f16_e32 v68, v36, v8
	;; [unrolled: 3-line block ×3, first 2 shown]
	v_fma_f16 v15, v37, v49, -v60
	v_fmac_f16_e32 v72, v39, v11
	v_fma_f16 v11, v39, v47, -v62
	v_fmac_f16_e32 v74, v7, v41
	v_fma_f16 v7, v46, v41, -v64
	v_fma_f16 v12, v34, v53, -v56
	;; [unrolled: 1-line block ×3, first 2 shown]
	v_fmac_f16_e32 v71, v38, v13
	v_fma_f16 v13, v38, v48, -v61
	v_fmac_f16_e32 v73, v9, v40
	v_fma_f16 v9, v45, v40, -v63
	v_add_f16_e32 v34, v66, v68
	v_add_f16_e32 v39, v67, v69
	v_sub_f16_e32 v40, v10, v6
	v_add_f16_e32 v41, v14, v10
	v_add_f16_e32 v10, v10, v6
	v_sub_f16_e32 v52, v11, v7
	v_add_f16_e32 v53, v15, v11
	v_add_f16_e32 v11, v11, v7
	v_add_f16_e32 v33, v4, v66
	v_sub_f16_e32 v35, v12, v8
	v_add_f16_e32 v36, v43, v12
	v_add_f16_e32 v12, v12, v8
	v_add_f16_e32 v38, v65, v67
	v_sub_f16_e32 v42, v67, v69
	v_add_f16_e32 v45, v5, v71
	v_sub_f16_e32 v47, v13, v9
	v_add_f16_e32 v48, v44, v13
	v_add_f16_e32 v13, v13, v9
	;; [unrolled: 1-line block ×4, first 2 shown]
	v_sub_f16_e32 v54, v72, v74
	v_fma_f16 v4, -0.5, v34, v4
	v_fmac_f16_e32 v65, -0.5, v39
	v_fmac_f16_e32 v14, -0.5, v10
	;; [unrolled: 1-line block ×3, first 2 shown]
	v_sub_f16_e32 v37, v66, v68
	v_add_f16_e32 v46, v71, v73
	v_add_f16_e32 v33, v33, v68
	;; [unrolled: 1-line block ×3, first 2 shown]
	v_fmac_f16_e32 v43, -0.5, v12
	v_add_f16_e32 v12, v38, v69
	v_add_f16_e32 v6, v41, v6
	;; [unrolled: 1-line block ×4, first 2 shown]
	v_fmac_f16_e32 v44, -0.5, v13
	v_add_f16_e32 v13, v50, v74
	v_fmac_f16_e32 v70, -0.5, v51
	v_add_f16_e32 v7, v53, v7
	v_fmamk_f16 v11, v35, 0xbaee, v4
	v_fmac_f16_e32 v4, 0x3aee, v35
	v_fmamk_f16 v35, v40, 0xbaee, v65
	v_fmac_f16_e32 v65, 0x3aee, v40
	;; [unrolled: 2-line block ×4, first 2 shown]
	v_sub_f16_e32 v49, v71, v73
	v_fmac_f16_e32 v5, -0.5, v46
	v_fmamk_f16 v34, v37, 0x3aee, v43
	v_fmac_f16_e32 v43, 0xbaee, v37
	v_add_f16_e32 v37, v33, v12
	v_add_f16_e32 v38, v8, v6
	v_sub_f16_e32 v12, v33, v12
	v_sub_f16_e32 v6, v8, v6
	v_fmamk_f16 v39, v52, 0xbaee, v70
	v_add_f16_e32 v41, v10, v13
	v_add_f16_e32 v42, v9, v7
	v_sub_f16_e32 v10, v10, v13
	v_sub_f16_e32 v7, v9, v7
	v_mul_f16_e32 v9, 0xbaee, v36
	v_mul_f16_e32 v13, 0xbaee, v14
	v_mul_f16_e32 v36, 0.5, v36
	v_mul_f16_e32 v14, -0.5, v14
	v_mul_f16_e32 v45, 0xbaee, v40
	v_mul_f16_e32 v40, 0.5, v40
	v_fmac_f16_e32 v70, 0x3aee, v52
	v_mul_f16_e32 v46, 0xbaee, v15
	v_mul_f16_e32 v15, -0.5, v15
	v_fmamk_f16 v8, v47, 0xbaee, v5
	v_fmamk_f16 v33, v49, 0x3aee, v44
	v_pack_b32_f16 v37, v37, v38
	v_pack_b32_f16 v6, v12, v6
	;; [unrolled: 1-line block ×3, first 2 shown]
	v_fmac_f16_e32 v9, 0.5, v35
	v_fmac_f16_e32 v13, -0.5, v65
	v_fmac_f16_e32 v36, 0x3aee, v35
	v_fmac_f16_e32 v14, 0x3aee, v65
	v_fmac_f16_e32 v45, 0.5, v39
	v_fmac_f16_e32 v40, 0x3aee, v39
	v_fmac_f16_e32 v5, 0x3aee, v47
	;; [unrolled: 1-line block ×3, first 2 shown]
	v_fmac_f16_e32 v46, -0.5, v70
	v_fmac_f16_e32 v15, 0x3aee, v70
	v_pack_b32_f16 v7, v10, v7
	ds_store_2addr_b32 v16, v37, v12 offset1:102
	v_add_f16_e32 v10, v11, v9
	v_add_f16_e32 v12, v4, v13
	;; [unrolled: 1-line block ×4, first 2 shown]
	v_sub_f16_e32 v9, v11, v9
	v_sub_f16_e32 v4, v4, v13
	;; [unrolled: 1-line block ×4, first 2 shown]
	v_add_f16_e32 v14, v8, v45
	v_add_f16_e32 v36, v33, v40
	;; [unrolled: 1-line block ×4, first 2 shown]
	v_sub_f16_e32 v8, v8, v45
	v_sub_f16_e32 v33, v33, v40
	;; [unrolled: 1-line block ×4, first 2 shown]
	v_pack_b32_f16 v10, v10, v35
	v_pack_b32_f16 v9, v9, v11
	;; [unrolled: 1-line block ×8, first 2 shown]
	ds_store_2addr_b32 v18, v6, v7 offset0:99 offset1:201
	ds_store_2addr_b32 v1, v10, v11 offset0:33 offset1:135
	;; [unrolled: 1-line block ×5, first 2 shown]
	s_and_saveexec_b32 s1, s0
	s_cbranch_execz .LBB0_23
; %bb.22:
	v_add_nc_u32_e32 v1, 0xcc, v0
	v_dual_mov_b32 v5, 0 :: v_dual_add_nc_u32 v4, 0xffffffab, v0
	s_delay_alu instid0(VALU_DEP_1) | instskip(NEXT) | instid1(VALU_DEP_1)
	v_cndmask_b32_e64 v1, v4, v1, s0
	v_mul_i32_i24_e32 v4, 5, v1
	s_delay_alu instid0(VALU_DEP_1) | instskip(NEXT) | instid1(VALU_DEP_1)
	v_lshlrev_b64_e32 v[4:5], 2, v[4:5]
	v_add_co_u32 v8, s0, s4, v4
	s_wait_alu 0xf1ff
	s_delay_alu instid0(VALU_DEP_2)
	v_add_co_ci_u32_e64 v9, s0, s5, v5, s0
	s_clause 0x1
	global_load_b128 v[4:7], v[8:9], off offset:1088
	global_load_b32 v1, v[8:9], off offset:1104
	s_wait_loadcnt 0x1
	v_lshrrev_b32_e32 v8, 16, v5
	v_lshrrev_b32_e32 v11, 16, v6
	s_wait_loadcnt 0x0
	v_lshrrev_b32_e32 v12, 16, v1
	v_lshrrev_b32_e32 v9, 16, v7
	;; [unrolled: 1-line block ×3, first 2 shown]
	v_mul_f16_e32 v13, v25, v8
	v_mul_f16_e32 v8, v27, v8
	;; [unrolled: 1-line block ×10, first 2 shown]
	v_fma_f16 v13, v27, v5, -v13
	v_fmac_f16_e32 v8, v25, v5
	v_fmac_f16_e32 v18, v29, v1
	v_fma_f16 v5, v23, v6, -v11
	v_fma_f16 v1, v30, v1, -v12
	v_fma_f16 v14, v22, v7, -v14
	v_fmac_f16_e32 v9, v20, v7
	v_fmac_f16_e32 v15, v26, v4
	;; [unrolled: 1-line block ×3, first 2 shown]
	v_fma_f16 v4, v28, v4, -v10
	v_add_f16_e32 v12, v5, v1
	v_add_f16_e32 v6, v13, v14
	v_sub_f16_e32 v7, v8, v9
	v_add_f16_e32 v10, v17, v18
	v_sub_f16_e32 v11, v5, v1
	v_sub_f16_e32 v20, v17, v18
	v_add_f16_e32 v21, v24, v13
	v_add_f16_e32 v5, v4, v5
	;; [unrolled: 1-line block ×5, first 2 shown]
	v_fma_f16 v4, -0.5, v12, v4
	v_fma_f16 v6, -0.5, v6, v24
	;; [unrolled: 1-line block ×3, first 2 shown]
	v_add_f16_e32 v12, v21, v14
	v_add_f16_e32 v1, v5, v1
	;; [unrolled: 1-line block ×4, first 2 shown]
	v_fmamk_f16 v17, v20, 0xbaee, v4
	v_fmac_f16_e32 v4, 0x3aee, v20
	v_sub_f16_e32 v13, v13, v14
	v_fma_f16 v5, -0.5, v22, v19
	v_fmamk_f16 v14, v7, 0xbaee, v6
	v_fmamk_f16 v15, v11, 0x3aee, v10
	v_fmac_f16_e32 v6, 0x3aee, v7
	v_fmac_f16_e32 v10, 0xbaee, v11
	v_sub_f16_e32 v7, v12, v1
	v_add_f16_e32 v1, v12, v1
	v_mul_f16_e32 v12, -0.5, v17
	v_mul_f16_e32 v18, 0.5, v4
	v_mul_f16_e32 v4, 0xbaee, v4
	v_fmamk_f16 v11, v13, 0x3aee, v5
	v_fmac_f16_e32 v5, 0xbaee, v13
	v_sub_f16_e32 v13, v8, v9
	v_add_f16_e32 v8, v8, v9
	v_mul_f16_e32 v9, 0xbaee, v17
	v_fmac_f16_e32 v12, 0x3aee, v15
	v_fmac_f16_e32 v18, 0x3aee, v10
	v_fmac_f16_e32 v4, 0.5, v10
	v_pack_b32_f16 v1, v8, v1
	v_fmac_f16_e32 v9, -0.5, v15
	v_sub_f16_e32 v8, v14, v12
	v_sub_f16_e32 v10, v6, v18
	v_add_f16_e32 v12, v14, v12
	v_add_f16_e32 v6, v6, v18
	;; [unrolled: 1-line block ×4, first 2 shown]
	v_sub_f16_e32 v4, v5, v4
	v_sub_f16_e32 v5, v11, v9
	v_pack_b32_f16 v7, v13, v7
	v_pack_b32_f16 v6, v14, v6
	;; [unrolled: 1-line block ×5, first 2 shown]
	ds_store_b32 v16, v1 offset:816
	ds_store_b32 v16, v6 offset:1972
	;; [unrolled: 1-line block ×6, first 2 shown]
.LBB0_23:
	s_wait_alu 0xfffe
	s_or_b32 exec_lo, exec_lo, s1
	global_wb scope:SCOPE_SE
	s_wait_dscnt 0x0
	s_barrier_signal -1
	s_barrier_wait -1
	global_inv scope:SCOPE_SE
	s_and_saveexec_b32 s0, vcc_lo
	s_cbranch_execz .LBB0_25
; %bb.24:
	v_dual_mov_b32 v1, 0 :: v_dual_add_nc_u32 v6, 0x66, v0
	v_add_co_u32 v29, vcc_lo, s8, v2
	s_wait_alu 0xfffd
	v_add_co_ci_u32_e32 v30, vcc_lo, s9, v3, vcc_lo
	s_delay_alu instid0(VALU_DEP_3) | instskip(SKIP_3) | instid1(VALU_DEP_4)
	v_dual_mov_b32 v7, v1 :: v_dual_add_nc_u32 v8, 0xcc, v0
	v_lshlrev_b64_e32 v[2:3], 2, v[0:1]
	v_lshl_add_u32 v28, v0, 2, 0
	v_mov_b32_e32 v9, v1
	v_lshlrev_b64_e32 v[6:7], 2, v[6:7]
	v_dual_mov_b32 v11, v1 :: v_dual_add_nc_u32 v10, 0x132, v0
	v_add_co_u32 v2, vcc_lo, v29, v2
	v_add_nc_u32_e32 v12, 0x200, v28
	v_lshlrev_b64_e32 v[8:9], 2, v[8:9]
	v_dual_mov_b32 v15, v1 :: v_dual_add_nc_u32 v14, 0x198, v0
	s_wait_alu 0xfffd
	v_add_co_ci_u32_e32 v3, vcc_lo, v30, v3, vcc_lo
	v_dual_mov_b32 v19, v1 :: v_dual_add_nc_u32 v16, 0x400, v28
	ds_load_2addr_b32 v[4:5], v28 offset1:102
	v_add_co_u32 v6, vcc_lo, v29, v6
	v_lshlrev_b64_e32 v[10:11], 2, v[10:11]
	v_dual_mov_b32 v21, v1 :: v_dual_add_nc_u32 v18, 0x1fe, v0
	v_dual_mov_b32 v27, v1 :: v_dual_add_nc_u32 v24, 0x800, v28
	s_wait_alu 0xfffd
	v_add_co_ci_u32_e32 v7, vcc_lo, v30, v7, vcc_lo
	ds_load_2addr_b32 v[12:13], v12 offset0:76 offset1:178
	v_add_co_u32 v8, vcc_lo, v29, v8
	v_lshlrev_b64_e32 v[14:15], 2, v[14:15]
	ds_load_2addr_b32 v[16:17], v16 offset0:152 offset1:254
	v_dual_mov_b32 v23, v1 :: v_dual_add_nc_u32 v20, 0x264, v0
	s_wait_alu 0xfffd
	v_add_co_ci_u32_e32 v9, vcc_lo, v30, v9, vcc_lo
	v_add_co_u32 v10, vcc_lo, v29, v10
	v_lshlrev_b64_e32 v[18:19], 2, v[18:19]
	ds_load_2addr_b32 v[24:25], v24 offset0:100 offset1:202
	v_add_nc_u32_e32 v22, 0x2ca, v0
	s_wait_alu 0xfffd
	v_add_co_ci_u32_e32 v11, vcc_lo, v30, v11, vcc_lo
	v_add_co_u32 v14, vcc_lo, v29, v14
	v_lshlrev_b64_e32 v[20:21], 2, v[20:21]
	s_wait_alu 0xfffd
	v_add_co_ci_u32_e32 v15, vcc_lo, v30, v15, vcc_lo
	v_add_co_u32 v18, vcc_lo, v29, v18
	v_lshlrev_b64_e32 v[22:23], 2, v[22:23]
	s_wait_alu 0xfffd
	v_add_co_ci_u32_e32 v19, vcc_lo, v30, v19, vcc_lo
	v_add_co_u32 v20, vcc_lo, v29, v20
	s_wait_alu 0xfffd
	v_add_co_ci_u32_e32 v21, vcc_lo, v30, v21, vcc_lo
	v_add_nc_u32_e32 v26, 0x330, v0
	v_add_co_u32 v22, vcc_lo, v29, v22
	s_wait_alu 0xfffd
	v_add_co_ci_u32_e32 v23, vcc_lo, v30, v23, vcc_lo
	s_wait_dscnt 0x3
	s_clause 0x1
	global_store_b32 v[2:3], v4, off
	global_store_b32 v[6:7], v5, off
	s_wait_dscnt 0x2
	s_clause 0x1
	global_store_b32 v[8:9], v12, off
	global_store_b32 v[10:11], v13, off
	;; [unrolled: 4-line block ×4, first 2 shown]
	v_dual_mov_b32 v9, v1 :: v_dual_add_nc_u32 v4, 0x396, v0
	v_mov_b32_e32 v11, v1
	v_mov_b32_e32 v5, v1
	v_lshlrev_b64_e32 v[26:27], 2, v[26:27]
	v_dual_mov_b32 v15, v1 :: v_dual_add_nc_u32 v8, 0x3fc, v0
	v_dual_mov_b32 v21, v1 :: v_dual_add_nc_u32 v10, 0x462, v0
	s_delay_alu instid0(VALU_DEP_4) | instskip(NEXT) | instid1(VALU_DEP_4)
	v_lshlrev_b64_e32 v[4:5], 2, v[4:5]
	v_add_co_u32 v6, vcc_lo, v29, v26
	s_delay_alu instid0(VALU_DEP_4)
	v_lshlrev_b64_e32 v[8:9], 2, v[8:9]
	v_add_nc_u32_e32 v31, 0xc00, v28
	v_dual_mov_b32 v23, v1 :: v_dual_add_nc_u32 v14, 0x4c8, v0
	s_wait_alu 0xfffd
	v_add_co_ci_u32_e32 v7, vcc_lo, v30, v27, vcc_lo
	v_dual_mov_b32 v19, v1 :: v_dual_add_nc_u32 v12, 0xe00, v28
	v_add_co_u32 v4, vcc_lo, v29, v4
	v_lshlrev_b64_e32 v[10:11], 2, v[10:11]
	v_add_nc_u32_e32 v18, 0x52e, v0
	s_wait_alu 0xfffd
	v_add_co_ci_u32_e32 v5, vcc_lo, v30, v5, vcc_lo
	v_add_nc_u32_e32 v16, 0x1200, v28
	ds_load_2addr_b32 v[2:3], v31 offset0:48 offset1:150
	v_add_co_u32 v8, vcc_lo, v29, v8
	v_lshlrev_b64_e32 v[14:15], 2, v[14:15]
	v_add_nc_u32_e32 v20, 0x594, v0
	v_add_nc_u32_e32 v24, 0x1400, v28
	ds_load_2addr_b32 v[12:13], v12 offset0:124 offset1:226
	s_wait_alu 0xfffd
	v_add_co_ci_u32_e32 v9, vcc_lo, v30, v9, vcc_lo
	v_add_co_u32 v10, vcc_lo, v29, v10
	v_lshlrev_b64_e32 v[18:19], 2, v[18:19]
	ds_load_2addr_b32 v[16:17], v16 offset0:72 offset1:174
	v_add_nc_u32_e32 v22, 0x5fa, v0
	s_wait_alu 0xfffd
	v_add_co_ci_u32_e32 v11, vcc_lo, v30, v11, vcc_lo
	v_add_co_u32 v14, vcc_lo, v29, v14
	v_lshlrev_b64_e32 v[20:21], 2, v[20:21]
	ds_load_2addr_b32 v[24:25], v24 offset0:148 offset1:250
	v_add_nc_u32_e32 v0, 0x660, v0
	s_wait_alu 0xfffd
	v_add_co_ci_u32_e32 v15, vcc_lo, v30, v15, vcc_lo
	ds_load_b32 v26, v28 offset:6528
	v_add_co_u32 v18, vcc_lo, v29, v18
	v_lshlrev_b64_e32 v[22:23], 2, v[22:23]
	s_wait_alu 0xfffd
	v_add_co_ci_u32_e32 v19, vcc_lo, v30, v19, vcc_lo
	v_add_co_u32 v20, vcc_lo, v29, v20
	v_lshlrev_b64_e32 v[0:1], 2, v[0:1]
	s_wait_alu 0xfffd
	v_add_co_ci_u32_e32 v21, vcc_lo, v30, v21, vcc_lo
	v_add_co_u32 v22, vcc_lo, v29, v22
	s_wait_alu 0xfffd
	v_add_co_ci_u32_e32 v23, vcc_lo, v30, v23, vcc_lo
	v_add_co_u32 v0, vcc_lo, v29, v0
	s_wait_alu 0xfffd
	v_add_co_ci_u32_e32 v1, vcc_lo, v30, v1, vcc_lo
	s_wait_dscnt 0x4
	s_clause 0x1
	global_store_b32 v[6:7], v2, off
	global_store_b32 v[4:5], v3, off
	s_wait_dscnt 0x3
	s_clause 0x1
	global_store_b32 v[8:9], v12, off
	global_store_b32 v[10:11], v13, off
	;; [unrolled: 4-line block ×4, first 2 shown]
	s_wait_dscnt 0x0
	global_store_b32 v[0:1], v26, off
.LBB0_25:
	s_nop 0
	s_sendmsg sendmsg(MSG_DEALLOC_VGPRS)
	s_endpgm
	.section	.rodata,"a",@progbits
	.p2align	6, 0x0
	.amdhsa_kernel fft_rtc_back_len1734_factors_17_17_6_wgs_102_tpt_102_halfLds_half_ip_CI_unitstride_sbrr_C2R_dirReg
		.amdhsa_group_segment_fixed_size 0
		.amdhsa_private_segment_fixed_size 0
		.amdhsa_kernarg_size 88
		.amdhsa_user_sgpr_count 2
		.amdhsa_user_sgpr_dispatch_ptr 0
		.amdhsa_user_sgpr_queue_ptr 0
		.amdhsa_user_sgpr_kernarg_segment_ptr 1
		.amdhsa_user_sgpr_dispatch_id 0
		.amdhsa_user_sgpr_private_segment_size 0
		.amdhsa_wavefront_size32 1
		.amdhsa_uses_dynamic_stack 0
		.amdhsa_enable_private_segment 0
		.amdhsa_system_sgpr_workgroup_id_x 1
		.amdhsa_system_sgpr_workgroup_id_y 0
		.amdhsa_system_sgpr_workgroup_id_z 0
		.amdhsa_system_sgpr_workgroup_info 0
		.amdhsa_system_vgpr_workitem_id 0
		.amdhsa_next_free_vgpr 78
		.amdhsa_next_free_sgpr 32
		.amdhsa_reserve_vcc 1
		.amdhsa_float_round_mode_32 0
		.amdhsa_float_round_mode_16_64 0
		.amdhsa_float_denorm_mode_32 3
		.amdhsa_float_denorm_mode_16_64 3
		.amdhsa_fp16_overflow 0
		.amdhsa_workgroup_processor_mode 1
		.amdhsa_memory_ordered 1
		.amdhsa_forward_progress 0
		.amdhsa_round_robin_scheduling 0
		.amdhsa_exception_fp_ieee_invalid_op 0
		.amdhsa_exception_fp_denorm_src 0
		.amdhsa_exception_fp_ieee_div_zero 0
		.amdhsa_exception_fp_ieee_overflow 0
		.amdhsa_exception_fp_ieee_underflow 0
		.amdhsa_exception_fp_ieee_inexact 0
		.amdhsa_exception_int_div_zero 0
	.end_amdhsa_kernel
	.text
.Lfunc_end0:
	.size	fft_rtc_back_len1734_factors_17_17_6_wgs_102_tpt_102_halfLds_half_ip_CI_unitstride_sbrr_C2R_dirReg, .Lfunc_end0-fft_rtc_back_len1734_factors_17_17_6_wgs_102_tpt_102_halfLds_half_ip_CI_unitstride_sbrr_C2R_dirReg
                                        ; -- End function
	.section	.AMDGPU.csdata,"",@progbits
; Kernel info:
; codeLenInByte = 17140
; NumSgprs: 34
; NumVgprs: 78
; ScratchSize: 0
; MemoryBound: 0
; FloatMode: 240
; IeeeMode: 1
; LDSByteSize: 0 bytes/workgroup (compile time only)
; SGPRBlocks: 4
; VGPRBlocks: 9
; NumSGPRsForWavesPerEU: 34
; NumVGPRsForWavesPerEU: 78
; Occupancy: 16
; WaveLimiterHint : 1
; COMPUTE_PGM_RSRC2:SCRATCH_EN: 0
; COMPUTE_PGM_RSRC2:USER_SGPR: 2
; COMPUTE_PGM_RSRC2:TRAP_HANDLER: 0
; COMPUTE_PGM_RSRC2:TGID_X_EN: 1
; COMPUTE_PGM_RSRC2:TGID_Y_EN: 0
; COMPUTE_PGM_RSRC2:TGID_Z_EN: 0
; COMPUTE_PGM_RSRC2:TIDIG_COMP_CNT: 0
	.text
	.p2alignl 7, 3214868480
	.fill 96, 4, 3214868480
	.type	__hip_cuid_504b2d886c7edf82,@object ; @__hip_cuid_504b2d886c7edf82
	.section	.bss,"aw",@nobits
	.globl	__hip_cuid_504b2d886c7edf82
__hip_cuid_504b2d886c7edf82:
	.byte	0                               ; 0x0
	.size	__hip_cuid_504b2d886c7edf82, 1

	.ident	"AMD clang version 19.0.0git (https://github.com/RadeonOpenCompute/llvm-project roc-6.4.0 25133 c7fe45cf4b819c5991fe208aaa96edf142730f1d)"
	.section	".note.GNU-stack","",@progbits
	.addrsig
	.addrsig_sym __hip_cuid_504b2d886c7edf82
	.amdgpu_metadata
---
amdhsa.kernels:
  - .args:
      - .actual_access:  read_only
        .address_space:  global
        .offset:         0
        .size:           8
        .value_kind:     global_buffer
      - .offset:         8
        .size:           8
        .value_kind:     by_value
      - .actual_access:  read_only
        .address_space:  global
        .offset:         16
        .size:           8
        .value_kind:     global_buffer
      - .actual_access:  read_only
        .address_space:  global
        .offset:         24
        .size:           8
        .value_kind:     global_buffer
      - .offset:         32
        .size:           8
        .value_kind:     by_value
      - .actual_access:  read_only
        .address_space:  global
        .offset:         40
        .size:           8
        .value_kind:     global_buffer
      - .actual_access:  read_only
        .address_space:  global
        .offset:         48
        .size:           8
        .value_kind:     global_buffer
      - .offset:         56
        .size:           4
        .value_kind:     by_value
      - .actual_access:  read_only
        .address_space:  global
        .offset:         64
        .size:           8
        .value_kind:     global_buffer
      - .actual_access:  read_only
        .address_space:  global
        .offset:         72
        .size:           8
        .value_kind:     global_buffer
      - .address_space:  global
        .offset:         80
        .size:           8
        .value_kind:     global_buffer
    .group_segment_fixed_size: 0
    .kernarg_segment_align: 8
    .kernarg_segment_size: 88
    .language:       OpenCL C
    .language_version:
      - 2
      - 0
    .max_flat_workgroup_size: 102
    .name:           fft_rtc_back_len1734_factors_17_17_6_wgs_102_tpt_102_halfLds_half_ip_CI_unitstride_sbrr_C2R_dirReg
    .private_segment_fixed_size: 0
    .sgpr_count:     34
    .sgpr_spill_count: 0
    .symbol:         fft_rtc_back_len1734_factors_17_17_6_wgs_102_tpt_102_halfLds_half_ip_CI_unitstride_sbrr_C2R_dirReg.kd
    .uniform_work_group_size: 1
    .uses_dynamic_stack: false
    .vgpr_count:     78
    .vgpr_spill_count: 0
    .wavefront_size: 32
    .workgroup_processor_mode: 1
amdhsa.target:   amdgcn-amd-amdhsa--gfx1201
amdhsa.version:
  - 1
  - 2
...

	.end_amdgpu_metadata
